;; amdgpu-corpus repo=ROCm/rocFFT kind=compiled arch=gfx906 opt=O3
	.text
	.amdgcn_target "amdgcn-amd-amdhsa--gfx906"
	.amdhsa_code_object_version 6
	.protected	bluestein_single_fwd_len1650_dim1_dp_op_CI_CI ; -- Begin function bluestein_single_fwd_len1650_dim1_dp_op_CI_CI
	.globl	bluestein_single_fwd_len1650_dim1_dp_op_CI_CI
	.p2align	8
	.type	bluestein_single_fwd_len1650_dim1_dp_op_CI_CI,@function
bluestein_single_fwd_len1650_dim1_dp_op_CI_CI: ; @bluestein_single_fwd_len1650_dim1_dp_op_CI_CI
; %bb.0:
	s_load_dwordx4 s[8:11], s[4:5], 0x28
	s_mov_b64 s[46:47], s[2:3]
	v_mul_u32_u24_e32 v1, 0x254, v0
	s_mov_b64 s[44:45], s[0:1]
	v_add_u32_sdwa v4, s6, v1 dst_sel:DWORD dst_unused:UNUSED_PAD src0_sel:DWORD src1_sel:WORD_1
	v_mov_b32_e32 v5, 0
	s_add_u32 s44, s44, s7
	s_waitcnt lgkmcnt(0)
	v_cmp_gt_u64_e32 vcc, s[8:9], v[4:5]
	s_addc_u32 s45, s45, 0
	s_and_saveexec_b64 s[0:1], vcc
	s_cbranch_execz .LBB0_23
; %bb.1:
	s_load_dwordx4 s[12:15], s[4:5], 0x18
	s_load_dwordx2 s[16:17], s[4:5], 0x0
	s_movk_i32 s6, 0x6e
	v_mul_lo_u16_sdwa v1, v1, s6 dst_sel:DWORD dst_unused:UNUSED_PAD src0_sel:WORD_1 src1_sel:DWORD
	v_sub_u16_e32 v215, v0, v1
	s_waitcnt lgkmcnt(0)
	s_load_dwordx4 s[0:3], s[12:13], 0x0
	v_mov_b32_e32 v5, v4
	buffer_store_dword v5, off, s[44:47], 0 ; 4-byte Folded Spill
	s_nop 0
	buffer_store_dword v6, off, s[44:47], 0 offset:4 ; 4-byte Folded Spill
	v_lshlrev_b32_e32 v66, 4, v215
	s_waitcnt lgkmcnt(0)
	v_mad_u64_u32 v[0:1], s[6:7], s2, v4, 0
	v_mad_u64_u32 v[2:3], s[6:7], s0, v215, 0
	s_mul_i32 s6, s1, 0x96
	s_mul_hi_u32 s7, s0, 0x96
	v_mad_u64_u32 v[4:5], s[2:3], s3, v4, v[1:2]
	s_add_i32 s7, s7, s6
	s_mul_i32 s6, s0, 0x96
	v_mad_u64_u32 v[5:6], s[2:3], s1, v215, v[3:4]
	v_mov_b32_e32 v1, v4
	v_lshlrev_b64 v[0:1], 4, v[0:1]
	v_mov_b32_e32 v6, s11
	v_mov_b32_e32 v3, v5
	v_add_co_u32_e32 v4, vcc, s10, v0
	v_addc_co_u32_e32 v5, vcc, v6, v1, vcc
	v_lshlrev_b64 v[0:1], 4, v[2:3]
	v_mov_b32_e32 v2, s17
	v_add_co_u32_e32 v0, vcc, v4, v0
	v_add_co_u32_e64 v64, s[2:3], s16, v66
	v_addc_co_u32_e32 v1, vcc, v5, v1, vcc
	v_addc_co_u32_e64 v65, vcc, 0, v2, s[2:3]
	s_lshl_b64 s[12:13], s[6:7], 4
	v_mov_b32_e32 v52, s13
	v_add_co_u32_e32 v2, vcc, s12, v0
	v_addc_co_u32_e32 v3, vcc, v1, v52, vcc
	global_load_dwordx4 v[12:15], v[0:1], off
	global_load_dwordx4 v[16:19], v[2:3], off
	global_load_dwordx4 v[111:114], v66, s[16:17]
	global_load_dwordx4 v[95:98], v66, s[16:17] offset:2400
	v_add_co_u32_e32 v2, vcc, s12, v2
	v_addc_co_u32_e32 v3, vcc, v3, v52, vcc
	s_movk_i32 s6, 0x1000
	v_add_co_u32_e32 v0, vcc, s6, v64
	global_load_dwordx4 v[20:23], v[2:3], off
	v_addc_co_u32_e32 v1, vcc, 0, v65, vcc
	global_load_dwordx4 v[99:102], v[0:1], off offset:704
	global_load_dwordx4 v[75:78], v[0:1], off offset:3104
	v_add_co_u32_e32 v2, vcc, s12, v2
	v_addc_co_u32_e32 v3, vcc, v3, v52, vcc
	v_add_co_u32_e32 v4, vcc, s12, v2
	v_addc_co_u32_e32 v5, vcc, v3, v52, vcc
	s_movk_i32 s6, 0x2000
	global_load_dwordx4 v[24:27], v[2:3], off
	global_load_dwordx4 v[28:31], v[4:5], off
	v_add_co_u32_e32 v2, vcc, s6, v64
	v_addc_co_u32_e32 v3, vcc, 0, v65, vcc
	v_add_co_u32_e32 v4, vcc, s12, v4
	v_addc_co_u32_e32 v5, vcc, v5, v52, vcc
	;; [unrolled: 2-line block ×3, first 2 shown]
	s_movk_i32 s6, 0x3000
	global_load_dwordx4 v[32:35], v[4:5], off
	global_load_dwordx4 v[103:106], v[2:3], off offset:1408
	global_load_dwordx4 v[79:82], v[2:3], off offset:3808
	v_add_co_u32_e32 v4, vcc, s6, v64
	v_addc_co_u32_e32 v5, vcc, 0, v65, vcc
	v_add_co_u32_e32 v8, vcc, s12, v6
	v_addc_co_u32_e32 v9, vcc, v7, v52, vcc
	s_movk_i32 s6, 0x4000
	global_load_dwordx4 v[36:39], v[6:7], off
	v_add_co_u32_e32 v6, vcc, s6, v64
	v_addc_co_u32_e32 v7, vcc, 0, v65, vcc
	global_load_dwordx4 v[40:43], v[8:9], off
	v_add_co_u32_e32 v8, vcc, s12, v8
	v_addc_co_u32_e32 v9, vcc, v9, v52, vcc
	v_add_co_u32_e32 v10, vcc, s12, v8
	v_addc_co_u32_e32 v11, vcc, v9, v52, vcc
	s_movk_i32 s6, 0x5000
	global_load_dwordx4 v[83:86], v[4:5], off offset:2112
	global_load_dwordx4 v[44:47], v[8:9], off
	global_load_dwordx4 v[107:110], v[6:7], off offset:416
	global_load_dwordx4 v[71:74], v[6:7], off offset:2816
	v_add_co_u32_e32 v8, vcc, s6, v64
	v_addc_co_u32_e32 v9, vcc, 0, v65, vcc
	global_load_dwordx4 v[48:51], v[10:11], off
	v_add_co_u32_e32 v10, vcc, s12, v10
	v_addc_co_u32_e32 v11, vcc, v11, v52, vcc
	global_load_dwordx4 v[87:90], v[8:9], off offset:1120
	global_load_dwordx4 v[52:55], v[10:11], off
	global_load_dwordx4 v[91:94], v[8:9], off offset:3520
	v_cmp_gt_u16_e32 vcc, 40, v215
	s_waitcnt vmcnt(19)
	v_mul_f64 v[56:57], v[14:15], v[113:114]
	s_waitcnt vmcnt(18)
	v_mul_f64 v[60:61], v[18:19], v[97:98]
	v_mul_f64 v[58:59], v[12:13], v[113:114]
	;; [unrolled: 1-line block ×3, first 2 shown]
	v_fma_f64 v[12:13], v[12:13], v[111:112], v[56:57]
	buffer_store_dword v111, off, s[44:47], 0 offset:172 ; 4-byte Folded Spill
	s_nop 0
	buffer_store_dword v112, off, s[44:47], 0 offset:176 ; 4-byte Folded Spill
	buffer_store_dword v113, off, s[44:47], 0 offset:180 ; 4-byte Folded Spill
	;; [unrolled: 1-line block ×3, first 2 shown]
	v_fma_f64 v[16:17], v[16:17], v[95:96], v[60:61]
	s_waitcnt vmcnt(20)
	v_mul_f64 v[67:68], v[22:23], v[101:102]
	buffer_store_dword v95, off, s[44:47], 0 offset:108 ; 4-byte Folded Spill
	s_nop 0
	buffer_store_dword v96, off, s[44:47], 0 offset:112 ; 4-byte Folded Spill
	buffer_store_dword v97, off, s[44:47], 0 offset:116 ; 4-byte Folded Spill
	buffer_store_dword v98, off, s[44:47], 0 offset:120 ; 4-byte Folded Spill
	v_mul_f64 v[69:70], v[20:21], v[101:102]
	v_fma_f64 v[20:21], v[20:21], v[99:100], v[67:68]
	buffer_store_dword v99, off, s[44:47], 0 offset:124 ; 4-byte Folded Spill
	s_nop 0
	buffer_store_dword v100, off, s[44:47], 0 offset:128 ; 4-byte Folded Spill
	buffer_store_dword v101, off, s[44:47], 0 offset:132 ; 4-byte Folded Spill
	buffer_store_dword v102, off, s[44:47], 0 offset:136 ; 4-byte Folded Spill
	s_load_dwordx2 s[6:7], s[4:5], 0x38
	s_load_dwordx4 s[8:11], s[14:15], 0x0
	s_waitcnt vmcnt(19)
	v_mul_f64 v[56:57], v[38:39], v[85:86]
	v_fma_f64 v[14:15], v[14:15], v[111:112], -v[58:59]
	v_mul_f64 v[58:59], v[36:37], v[85:86]
	v_fma_f64 v[18:19], v[18:19], v[95:96], -v[62:63]
	v_fma_f64 v[22:23], v[22:23], v[99:100], -v[69:70]
	ds_write_b128 v66, v[12:15]
	ds_write_b128 v66, v[16:19] offset:2400
	ds_write_b128 v66, v[20:23] offset:4800
	v_mul_f64 v[12:13], v[26:27], v[77:78]
	v_mul_f64 v[16:17], v[30:31], v[105:106]
	;; [unrolled: 1-line block ×6, first 2 shown]
	v_fma_f64 v[12:13], v[24:25], v[75:76], v[12:13]
	buffer_store_dword v75, off, s[44:47], 0 offset:28 ; 4-byte Folded Spill
	s_nop 0
	buffer_store_dword v76, off, s[44:47], 0 offset:32 ; 4-byte Folded Spill
	buffer_store_dword v77, off, s[44:47], 0 offset:36 ; 4-byte Folded Spill
	buffer_store_dword v78, off, s[44:47], 0 offset:40 ; 4-byte Folded Spill
	v_fma_f64 v[16:17], v[28:29], v[103:104], v[16:17]
	buffer_store_dword v103, off, s[44:47], 0 offset:140 ; 4-byte Folded Spill
	s_nop 0
	buffer_store_dword v104, off, s[44:47], 0 offset:144 ; 4-byte Folded Spill
	buffer_store_dword v105, off, s[44:47], 0 offset:148 ; 4-byte Folded Spill
	buffer_store_dword v106, off, s[44:47], 0 offset:152 ; 4-byte Folded Spill
	;; [unrolled: 6-line block ×4, first 2 shown]
	s_waitcnt vmcnt(33)
	v_mul_f64 v[28:29], v[42:43], v[109:110]
	s_waitcnt vmcnt(32)
	v_mul_f64 v[32:33], v[46:47], v[73:74]
	;; [unrolled: 2-line block ×4, first 2 shown]
	v_fma_f64 v[28:29], v[40:41], v[107:108], v[28:29]
	v_fma_f64 v[32:33], v[44:45], v[71:72], v[32:33]
	;; [unrolled: 1-line block ×3, first 2 shown]
	v_fma_f64 v[14:15], v[26:27], v[75:76], -v[14:15]
	v_fma_f64 v[18:19], v[30:31], v[103:104], -v[18:19]
	v_mul_f64 v[30:31], v[40:41], v[109:110]
	buffer_store_dword v107, off, s[44:47], 0 offset:156 ; 4-byte Folded Spill
	s_nop 0
	buffer_store_dword v108, off, s[44:47], 0 offset:160 ; 4-byte Folded Spill
	buffer_store_dword v109, off, s[44:47], 0 offset:164 ; 4-byte Folded Spill
	buffer_store_dword v110, off, s[44:47], 0 offset:168 ; 4-byte Folded Spill
	v_fma_f64 v[22:23], v[34:35], v[79:80], -v[22:23]
	v_mul_f64 v[34:35], v[44:45], v[73:74]
	buffer_store_dword v71, off, s[44:47], 0 offset:12 ; 4-byte Folded Spill
	s_nop 0
	buffer_store_dword v72, off, s[44:47], 0 offset:16 ; 4-byte Folded Spill
	buffer_store_dword v73, off, s[44:47], 0 offset:20 ; 4-byte Folded Spill
	buffer_store_dword v74, off, s[44:47], 0 offset:24 ; 4-byte Folded Spill
	v_fma_f64 v[26:27], v[38:39], v[83:84], -v[58:59]
	v_mul_f64 v[38:39], v[48:49], v[89:90]
	buffer_store_dword v87, off, s[44:47], 0 offset:76 ; 4-byte Folded Spill
	s_nop 0
	buffer_store_dword v88, off, s[44:47], 0 offset:80 ; 4-byte Folded Spill
	buffer_store_dword v89, off, s[44:47], 0 offset:84 ; 4-byte Folded Spill
	buffer_store_dword v90, off, s[44:47], 0 offset:88 ; 4-byte Folded Spill
	v_mul_f64 v[58:59], v[52:53], v[93:94]
	v_fma_f64 v[40:41], v[52:53], v[91:92], v[56:57]
	buffer_store_dword v91, off, s[44:47], 0 offset:92 ; 4-byte Folded Spill
	s_nop 0
	buffer_store_dword v92, off, s[44:47], 0 offset:96 ; 4-byte Folded Spill
	buffer_store_dword v93, off, s[44:47], 0 offset:100 ; 4-byte Folded Spill
	;; [unrolled: 1-line block ×3, first 2 shown]
	v_fma_f64 v[30:31], v[42:43], v[107:108], -v[30:31]
	v_fma_f64 v[34:35], v[46:47], v[71:72], -v[34:35]
	;; [unrolled: 1-line block ×4, first 2 shown]
	ds_write_b128 v66, v[12:15] offset:7200
	ds_write_b128 v66, v[16:19] offset:9600
	;; [unrolled: 1-line block ×8, first 2 shown]
	s_and_saveexec_b64 s[14:15], vcc
	s_cbranch_execz .LBB0_3
; %bb.2:
	v_mov_b32_e32 v12, 0xffffa920
	v_mad_u64_u32 v[14:15], s[18:19], s0, v12, v[10:11]
	s_mulk_i32 s1, 0xa920
	s_sub_i32 s0, s1, s0
	v_add_u32_e32 v15, s0, v15
	v_mov_b32_e32 v87, s13
	v_add_co_u32_e64 v26, s[0:1], s12, v14
	v_addc_co_u32_e64 v27, s[0:1], v15, v87, s[0:1]
	v_add_co_u32_e64 v30, s[0:1], s12, v26
	v_addc_co_u32_e64 v31, s[0:1], v27, v87, s[0:1]
	global_load_dwordx4 v[10:13], v[14:15], off
	v_add_co_u32_e64 v42, s[0:1], s12, v30
	global_load_dwordx4 v[14:17], v[26:27], off
	global_load_dwordx4 v[18:21], v[64:65], off offset:1760
	global_load_dwordx4 v[22:25], v[0:1], off offset:64
	v_addc_co_u32_e64 v43, s[0:1], v31, v87, s[0:1]
	global_load_dwordx4 v[26:29], v[30:31], off
	s_nop 0
	global_load_dwordx4 v[30:33], v[42:43], off
	global_load_dwordx4 v[34:37], v[0:1], off offset:2464
	global_load_dwordx4 v[38:41], v[2:3], off offset:768
	v_add_co_u32_e64 v0, s[0:1], s12, v42
	v_addc_co_u32_e64 v1, s[0:1], v43, v87, s[0:1]
	global_load_dwordx4 v[42:45], v[0:1], off
	v_add_co_u32_e64 v0, s[0:1], s12, v0
	v_addc_co_u32_e64 v1, s[0:1], v1, v87, s[0:1]
	v_add_co_u32_e64 v58, s[0:1], s12, v0
	v_addc_co_u32_e64 v59, s[0:1], v1, v87, s[0:1]
	;; [unrolled: 2-line block ×3, first 2 shown]
	global_load_dwordx4 v[46:49], v[0:1], off
	global_load_dwordx4 v[50:53], v[2:3], off offset:3168
	global_load_dwordx4 v[54:57], v[4:5], off offset:1472
	s_waitcnt vmcnt(5)
	v_mul_f64 v[95:96], v[28:29], v[36:37]
	global_load_dwordx4 v[0:3], v[58:59], off
	s_nop 0
	global_load_dwordx4 v[58:61], v[4:5], off offset:3872
	global_load_dwordx4 v[67:70], v[62:63], off
	global_load_dwordx4 v[71:74], v[6:7], off offset:2176
	v_add_co_u32_e64 v62, s[0:1], s12, v62
	v_addc_co_u32_e64 v63, s[0:1], v63, v87, s[0:1]
	global_load_dwordx4 v[4:7], v[62:63], off
	v_add_co_u32_e64 v62, s[0:1], s12, v62
	v_addc_co_u32_e64 v63, s[0:1], v63, v87, s[0:1]
	global_load_dwordx4 v[75:78], v[62:63], off
	global_load_dwordx4 v[79:82], v[8:9], off offset:480
	global_load_dwordx4 v[83:86], v[8:9], off offset:2880
	v_add_co_u32_e64 v8, s[0:1], s12, v62
	v_addc_co_u32_e64 v9, s[0:1], v63, v87, s[0:1]
	s_movk_i32 s0, 0x6000
	v_add_co_u32_e64 v62, s[0:1], s0, v64
	v_addc_co_u32_e64 v63, s[0:1], 0, v65, s[0:1]
	global_load_dwordx4 v[87:90], v[62:63], off offset:1184
	global_load_dwordx4 v[91:94], v[8:9], off
	v_mul_f64 v[8:9], v[12:13], v[20:21]
	v_mul_f64 v[20:21], v[10:11], v[20:21]
	;; [unrolled: 1-line block ×5, first 2 shown]
	s_waitcnt vmcnt(14)
	v_mul_f64 v[97:98], v[32:33], v[40:41]
	v_mul_f64 v[40:41], v[30:31], v[40:41]
	s_waitcnt vmcnt(11)
	v_mul_f64 v[99:100], v[44:45], v[52:53]
	v_fma_f64 v[8:9], v[10:11], v[18:19], v[8:9]
	v_fma_f64 v[10:11], v[12:13], v[18:19], -v[20:21]
	v_fma_f64 v[12:13], v[14:15], v[22:23], v[62:63]
	v_fma_f64 v[14:15], v[16:17], v[22:23], -v[24:25]
	;; [unrolled: 2-line block ×3, first 2 shown]
	v_mul_f64 v[52:53], v[42:43], v[52:53]
	s_waitcnt vmcnt(10)
	v_mul_f64 v[101:102], v[48:49], v[56:57]
	v_mul_f64 v[56:57], v[46:47], v[56:57]
	ds_write_b128 v66, v[8:11] offset:1760
	ds_write_b128 v66, v[12:15] offset:4160
	;; [unrolled: 1-line block ×3, first 2 shown]
	v_fma_f64 v[22:23], v[32:33], v[38:39], -v[40:41]
	v_fma_f64 v[20:21], v[30:31], v[38:39], v[97:98]
	v_fma_f64 v[24:25], v[42:43], v[50:51], v[99:100]
	v_fma_f64 v[26:27], v[44:45], v[50:51], -v[52:53]
	v_fma_f64 v[28:29], v[46:47], v[54:55], v[101:102]
	v_fma_f64 v[30:31], v[48:49], v[54:55], -v[56:57]
	s_waitcnt vmcnt(8)
	v_mul_f64 v[103:104], v[2:3], v[60:61]
	v_mul_f64 v[60:61], v[0:1], v[60:61]
	s_waitcnt vmcnt(6)
	v_mul_f64 v[8:9], v[69:70], v[73:74]
	v_mul_f64 v[10:11], v[67:68], v[73:74]
	v_fma_f64 v[0:1], v[0:1], v[58:59], v[103:104]
	v_fma_f64 v[2:3], v[2:3], v[58:59], -v[60:61]
	s_waitcnt vmcnt(3)
	v_mul_f64 v[12:13], v[6:7], v[81:82]
	v_mul_f64 v[14:15], v[4:5], v[81:82]
	s_waitcnt vmcnt(2)
	v_mul_f64 v[16:17], v[77:78], v[85:86]
	v_mul_f64 v[18:19], v[75:76], v[85:86]
	v_fma_f64 v[8:9], v[67:68], v[71:72], v[8:9]
	v_fma_f64 v[10:11], v[69:70], v[71:72], -v[10:11]
	v_fma_f64 v[4:5], v[4:5], v[79:80], v[12:13]
	v_fma_f64 v[6:7], v[6:7], v[79:80], -v[14:15]
	v_fma_f64 v[12:13], v[75:76], v[83:84], v[16:17]
	s_waitcnt vmcnt(0)
	v_mul_f64 v[32:33], v[93:94], v[89:90]
	v_mul_f64 v[34:35], v[91:92], v[89:90]
	v_fma_f64 v[14:15], v[77:78], v[83:84], -v[18:19]
	v_fma_f64 v[16:17], v[91:92], v[87:88], v[32:33]
	v_fma_f64 v[18:19], v[93:94], v[87:88], -v[34:35]
	ds_write_b128 v66, v[20:23] offset:8960
	ds_write_b128 v66, v[24:27] offset:11360
	;; [unrolled: 1-line block ×8, first 2 shown]
.LBB0_3:
	s_or_b64 exec, exec, s[14:15]
	s_waitcnt vmcnt(0) lgkmcnt(0)
	s_barrier
	ds_read_b128 v[32:35], v66
	ds_read_b128 v[44:47], v66 offset:2400
	ds_read_b128 v[36:39], v66 offset:4800
	;; [unrolled: 1-line block ×10, first 2 shown]
                                        ; implicit-def: $vgpr0_vgpr1
                                        ; implicit-def: $vgpr68_vgpr69
                                        ; implicit-def: $vgpr72_vgpr73
                                        ; implicit-def: $vgpr76_vgpr77
                                        ; implicit-def: $vgpr80_vgpr81
                                        ; implicit-def: $vgpr84_vgpr85
                                        ; implicit-def: $vgpr88_vgpr89
                                        ; implicit-def: $vgpr92_vgpr93
                                        ; implicit-def: $vgpr96_vgpr97
                                        ; implicit-def: $vgpr100_vgpr101
                                        ; implicit-def: $vgpr104_vgpr105
	s_and_saveexec_b64 s[0:1], vcc
	s_cbranch_execz .LBB0_5
; %bb.4:
	ds_read_b128 v[0:3], v66 offset:1760
	ds_read_b128 v[68:71], v66 offset:4160
	;; [unrolled: 1-line block ×11, first 2 shown]
.LBB0_5:
	s_or_b64 exec, exec, s[0:1]
	s_waitcnt lgkmcnt(9)
	v_add_f64 v[48:49], v[32:33], v[44:45]
	v_add_f64 v[50:51], v[34:35], v[46:47]
	s_waitcnt lgkmcnt(0)
	v_add_f64 v[52:53], v[44:45], v[8:9]
	v_add_f64 v[54:55], v[46:47], v[10:11]
	v_add_f64 v[44:45], v[44:45], -v[8:9]
	v_add_f64 v[46:47], v[46:47], -v[10:11]
	s_mov_b32 s34, 0x8eee2c13
	s_mov_b32 s22, 0x43842ef
	v_add_f64 v[48:49], v[48:49], v[36:37]
	v_add_f64 v[50:51], v[50:51], v[38:39]
	s_mov_b32 s24, 0xbb3a28a1
	s_mov_b32 s35, 0xbfed1bb4
	;; [unrolled: 1-line block ×4, first 2 shown]
	v_mul_f64 v[62:63], v[44:45], s[34:35]
	v_mul_f64 v[108:109], v[46:47], s[22:23]
	v_add_f64 v[48:49], v[48:49], v[24:25]
	v_add_f64 v[50:51], v[50:51], v[26:27]
	v_mul_f64 v[110:111], v[44:45], s[22:23]
	v_mul_f64 v[112:113], v[46:47], s[24:25]
	v_mul_f64 v[114:115], v[44:45], s[24:25]
	s_mov_b32 s14, 0xd9c712b6
	s_mov_b32 s18, 0x640f44db
	;; [unrolled: 1-line block ×3, first 2 shown]
	v_add_f64 v[48:49], v[48:49], v[16:17]
	v_add_f64 v[50:51], v[50:51], v[18:19]
	s_mov_b32 s15, 0x3fda9628
	s_mov_b32 s19, 0xbfc2375f
	;; [unrolled: 1-line block ×3, first 2 shown]
	v_fma_f64 v[122:123], v[54:55], s[14:15], v[62:63]
	v_fma_f64 v[62:63], v[54:55], s[14:15], -v[62:63]
	v_fma_f64 v[124:125], v[52:53], s[18:19], -v[108:109]
	v_add_f64 v[48:49], v[48:49], v[4:5]
	v_add_f64 v[50:51], v[50:51], v[6:7]
	v_fma_f64 v[126:127], v[54:55], s[18:19], v[110:111]
	v_fma_f64 v[128:129], v[52:53], s[20:21], -v[112:113]
	v_fma_f64 v[130:131], v[54:55], s[20:21], v[114:115]
	s_mov_b32 s26, 0xf8bb580b
	s_mov_b32 s27, 0xbfe14ced
	v_mul_f64 v[56:57], v[46:47], s[26:27]
	v_add_f64 v[48:49], v[48:49], v[12:13]
	v_add_f64 v[50:51], v[50:51], v[14:15]
	v_mul_f64 v[58:59], v[44:45], s[26:27]
	s_load_dwordx2 s[12:13], s[4:5], 0x8
	s_mov_b32 s4, 0x8764f0ba
	s_mov_b32 s28, 0xfd768dbf
	;; [unrolled: 1-line block ×4, first 2 shown]
	v_add_f64 v[48:49], v[48:49], v[20:21]
	v_add_f64 v[50:51], v[50:51], v[22:23]
	v_mul_f64 v[60:61], v[46:47], s[34:35]
	v_fma_f64 v[116:117], v[52:53], s[4:5], -v[56:57]
	v_fma_f64 v[118:119], v[54:55], s[4:5], v[58:59]
	v_fma_f64 v[56:57], v[52:53], s[4:5], v[56:57]
	v_fma_f64 v[58:59], v[54:55], s[4:5], -v[58:59]
	v_mul_f64 v[46:47], v[46:47], s[28:29]
	v_add_f64 v[48:49], v[48:49], v[28:29]
	v_add_f64 v[50:51], v[50:51], v[30:31]
	v_mul_f64 v[44:45], v[44:45], s[28:29]
	s_movk_i32 s0, 0x6e
	v_add_co_u32_e64 v214, s[0:1], s0, v215
	s_mov_b32 s0, 0x9bcd5057
	s_mov_b32 s1, 0xbfeeb42a
	v_add_f64 v[48:49], v[48:49], v[40:41]
	v_add_f64 v[50:51], v[50:51], v[42:43]
	v_fma_f64 v[120:121], v[52:53], s[14:15], -v[60:61]
	v_fma_f64 v[60:61], v[52:53], s[14:15], v[60:61]
	v_fma_f64 v[108:109], v[52:53], s[18:19], v[108:109]
	v_fma_f64 v[110:111], v[54:55], s[18:19], -v[110:111]
	v_add_f64 v[116:117], v[32:33], v[116:117]
	v_add_f64 v[118:119], v[34:35], v[118:119]
	;; [unrolled: 1-line block ×9, first 2 shown]
	v_add_f64 v[128:129], v[38:39], -v[42:43]
	v_add_f64 v[130:131], v[36:37], -v[40:41]
	v_add_f64 v[36:37], v[36:37], v[40:41]
	v_add_f64 v[38:39], v[38:39], v[42:43]
	;; [unrolled: 1-line block ×4, first 2 shown]
	v_fma_f64 v[112:113], v[52:53], s[20:21], v[112:113]
	v_fma_f64 v[114:115], v[54:55], s[20:21], -v[114:115]
	v_mul_f64 v[40:41], v[128:129], s[34:35]
	v_mul_f64 v[42:43], v[130:131], s[34:35]
	v_fma_f64 v[132:133], v[52:53], s[0:1], -v[46:47]
	v_fma_f64 v[134:135], v[54:55], s[0:1], v[44:45]
	v_mul_f64 v[136:137], v[128:129], s[24:25]
	v_mul_f64 v[138:139], v[130:131], s[24:25]
	v_fma_f64 v[46:47], v[52:53], s[0:1], v[46:47]
	v_fma_f64 v[44:45], v[54:55], s[0:1], -v[44:45]
	v_fma_f64 v[52:53], v[36:37], s[14:15], -v[40:41]
	v_fma_f64 v[54:55], v[38:39], s[14:15], v[42:43]
	v_fma_f64 v[40:41], v[36:37], s[14:15], v[40:41]
	v_fma_f64 v[42:43], v[38:39], s[14:15], -v[42:43]
	s_mov_b32 s41, 0x3fd207e7
	s_mov_b32 s40, s28
	;; [unrolled: 1-line block ×4, first 2 shown]
	v_add_f64 v[120:121], v[32:33], v[120:121]
	v_add_f64 v[122:123], v[34:35], v[122:123]
	;; [unrolled: 1-line block ×9, first 2 shown]
	v_fma_f64 v[140:141], v[36:37], s[20:21], -v[136:137]
	v_fma_f64 v[142:143], v[38:39], s[20:21], v[138:139]
	v_add_f64 v[32:33], v[32:33], v[46:47]
	v_add_f64 v[34:35], v[34:35], v[44:45]
	v_add_f64 v[44:45], v[52:53], v[116:117]
	v_add_f64 v[46:47], v[54:55], v[118:119]
	v_add_f64 v[40:41], v[40:41], v[56:57]
	v_add_f64 v[42:43], v[42:43], v[58:59]
	v_mul_f64 v[56:57], v[128:129], s[40:41]
	v_mul_f64 v[58:59], v[130:131], s[40:41]
	;; [unrolled: 1-line block ×4, first 2 shown]
	v_add_f64 v[52:53], v[140:141], v[120:121]
	v_add_f64 v[54:55], v[142:143], v[122:123]
	v_fma_f64 v[120:121], v[36:37], s[20:21], v[136:137]
	v_fma_f64 v[122:123], v[38:39], s[20:21], -v[138:139]
	v_fma_f64 v[136:137], v[36:37], s[0:1], -v[56:57]
	v_fma_f64 v[138:139], v[38:39], s[0:1], v[58:59]
	v_fma_f64 v[56:57], v[36:37], s[0:1], v[56:57]
	v_fma_f64 v[58:59], v[38:39], s[0:1], -v[58:59]
	v_fma_f64 v[140:141], v[36:37], s[18:19], -v[116:117]
	v_fma_f64 v[142:143], v[38:39], s[18:19], v[118:119]
	s_mov_b32 s31, 0x3fe14ced
	s_mov_b32 s30, s26
	v_add_f64 v[60:61], v[120:121], v[60:61]
	v_add_f64 v[48:49], v[122:123], v[48:49]
	;; [unrolled: 1-line block ×6, first 2 shown]
	v_add_f64 v[120:121], v[26:27], -v[30:31]
	v_add_f64 v[122:123], v[24:25], -v[28:29]
	v_mul_f64 v[124:125], v[128:129], s[30:31]
	v_mul_f64 v[126:127], v[130:131], s[30:31]
	v_fma_f64 v[116:117], v[36:37], s[18:19], v[116:117]
	v_fma_f64 v[118:119], v[38:39], s[18:19], -v[118:119]
	v_add_f64 v[24:25], v[24:25], v[28:29]
	v_add_f64 v[26:27], v[26:27], v[30:31]
	v_mul_f64 v[28:29], v[120:121], s[22:23]
	v_mul_f64 v[30:31], v[122:123], s[22:23]
	v_fma_f64 v[128:129], v[36:37], s[4:5], -v[124:125]
	v_fma_f64 v[130:131], v[38:39], s[4:5], v[126:127]
	v_add_f64 v[112:113], v[116:117], v[112:113]
	v_add_f64 v[114:115], v[118:119], v[114:115]
	v_fma_f64 v[36:37], v[36:37], s[4:5], v[124:125]
	v_fma_f64 v[38:39], v[38:39], s[4:5], -v[126:127]
	v_fma_f64 v[116:117], v[24:25], s[18:19], -v[28:29]
	v_fma_f64 v[118:119], v[26:27], s[18:19], v[30:31]
	v_add_f64 v[124:125], v[128:129], v[132:133]
	v_add_f64 v[126:127], v[130:131], v[134:135]
	v_mul_f64 v[128:129], v[120:121], s[40:41]
	v_mul_f64 v[130:131], v[122:123], s[40:41]
	s_mov_b32 s37, 0x3fed1bb4
	s_mov_b32 s36, s34
	v_add_f64 v[32:33], v[36:37], v[32:33]
	v_add_f64 v[34:35], v[38:39], v[34:35]
	;; [unrolled: 1-line block ×4, first 2 shown]
	v_fma_f64 v[28:29], v[24:25], s[18:19], v[28:29]
	v_fma_f64 v[30:31], v[26:27], s[18:19], -v[30:31]
	v_fma_f64 v[44:45], v[24:25], s[0:1], -v[128:129]
	v_fma_f64 v[46:47], v[26:27], s[0:1], v[130:131]
	v_mul_f64 v[116:117], v[120:121], s[36:37]
	v_mul_f64 v[118:119], v[122:123], s[36:37]
	v_add_f64 v[50:51], v[136:137], v[50:51]
	v_add_f64 v[62:63], v[138:139], v[62:63]
	;; [unrolled: 1-line block ×6, first 2 shown]
	v_fma_f64 v[44:45], v[24:25], s[0:1], v[128:129]
	v_fma_f64 v[46:47], v[26:27], s[0:1], -v[130:131]
	v_fma_f64 v[52:53], v[24:25], s[14:15], -v[116:117]
	v_fma_f64 v[54:55], v[26:27], s[14:15], v[118:119]
	v_mul_f64 v[128:129], v[120:121], s[26:27]
	v_mul_f64 v[130:131], v[122:123], s[26:27]
	v_fma_f64 v[116:117], v[24:25], s[14:15], v[116:117]
	v_fma_f64 v[118:119], v[26:27], s[14:15], -v[118:119]
	v_add_f64 v[44:45], v[44:45], v[60:61]
	v_add_f64 v[46:47], v[46:47], v[48:49]
	;; [unrolled: 1-line block ×4, first 2 shown]
	v_fma_f64 v[52:53], v[24:25], s[4:5], -v[128:129]
	v_fma_f64 v[54:55], v[26:27], s[4:5], v[130:131]
	v_add_f64 v[56:57], v[116:117], v[56:57]
	v_add_f64 v[58:59], v[118:119], v[58:59]
	v_fma_f64 v[60:61], v[24:25], s[4:5], v[128:129]
	v_fma_f64 v[62:63], v[26:27], s[4:5], -v[130:131]
	v_mul_f64 v[116:117], v[120:121], s[24:25]
	v_mul_f64 v[118:119], v[122:123], s[24:25]
	v_add_f64 v[52:53], v[52:53], v[108:109]
	v_add_f64 v[54:55], v[54:55], v[110:111]
	v_add_f64 v[108:109], v[18:19], -v[22:23]
	v_add_f64 v[110:111], v[16:17], -v[20:21]
	v_add_f64 v[60:61], v[60:61], v[112:113]
	v_add_f64 v[62:63], v[62:63], v[114:115]
	v_fma_f64 v[112:113], v[24:25], s[20:21], -v[116:117]
	v_fma_f64 v[114:115], v[26:27], s[20:21], v[118:119]
	v_add_f64 v[16:17], v[16:17], v[20:21]
	v_add_f64 v[18:19], v[18:19], v[22:23]
	v_mul_f64 v[20:21], v[108:109], s[24:25]
	v_mul_f64 v[22:23], v[110:111], s[24:25]
	v_fma_f64 v[24:25], v[24:25], s[20:21], v[116:117]
	v_fma_f64 v[26:27], v[26:27], s[20:21], -v[118:119]
	v_mul_f64 v[116:117], v[108:109], s[38:39]
	v_mul_f64 v[118:119], v[110:111], s[38:39]
	v_add_f64 v[112:113], v[112:113], v[124:125]
	v_add_f64 v[114:115], v[114:115], v[126:127]
	v_fma_f64 v[120:121], v[16:17], s[20:21], -v[20:21]
	v_fma_f64 v[122:123], v[18:19], s[20:21], v[22:23]
	v_add_f64 v[24:25], v[24:25], v[32:33]
	v_add_f64 v[26:27], v[26:27], v[34:35]
	v_fma_f64 v[20:21], v[16:17], s[20:21], v[20:21]
	v_fma_f64 v[22:23], v[18:19], s[20:21], -v[22:23]
	v_fma_f64 v[32:33], v[16:17], s[18:19], -v[116:117]
	v_fma_f64 v[34:35], v[18:19], s[18:19], v[118:119]
	v_add_f64 v[36:37], v[120:121], v[36:37]
	v_add_f64 v[38:39], v[122:123], v[38:39]
	v_mul_f64 v[120:121], v[108:109], s[26:27]
	v_mul_f64 v[122:123], v[110:111], s[26:27]
	v_add_f64 v[20:21], v[20:21], v[28:29]
	v_add_f64 v[22:23], v[22:23], v[30:31]
	v_add_f64 v[28:29], v[32:33], v[40:41]
	v_add_f64 v[30:31], v[34:35], v[42:43]
	v_fma_f64 v[32:33], v[16:17], s[18:19], v[116:117]
	v_fma_f64 v[34:35], v[18:19], s[18:19], -v[118:119]
	v_mul_f64 v[116:117], v[108:109], s[28:29]
	v_mul_f64 v[118:119], v[110:111], s[28:29]
	v_fma_f64 v[40:41], v[16:17], s[4:5], -v[120:121]
	v_fma_f64 v[42:43], v[18:19], s[4:5], v[122:123]
	v_fma_f64 v[120:121], v[16:17], s[4:5], v[120:121]
	v_fma_f64 v[122:123], v[18:19], s[4:5], -v[122:123]
	v_add_f64 v[32:33], v[32:33], v[44:45]
	v_add_f64 v[34:35], v[34:35], v[46:47]
	v_fma_f64 v[44:45], v[16:17], s[0:1], -v[116:117]
	v_fma_f64 v[46:47], v[18:19], s[0:1], v[118:119]
	v_add_f64 v[40:41], v[40:41], v[48:49]
	v_add_f64 v[42:43], v[42:43], v[50:51]
	;; [unrolled: 1-line block ×4, first 2 shown]
	v_mul_f64 v[56:57], v[108:109], s[36:37]
	v_mul_f64 v[58:59], v[110:111], s[36:37]
	v_add_f64 v[44:45], v[44:45], v[52:53]
	v_add_f64 v[46:47], v[46:47], v[54:55]
	v_add_f64 v[52:53], v[6:7], -v[14:15]
	v_add_f64 v[54:55], v[4:5], -v[12:13]
	v_fma_f64 v[108:109], v[16:17], s[0:1], v[116:117]
	v_fma_f64 v[110:111], v[18:19], s[0:1], -v[118:119]
	v_fma_f64 v[116:117], v[16:17], s[14:15], -v[56:57]
	v_fma_f64 v[118:119], v[18:19], s[14:15], v[58:59]
	v_add_f64 v[4:5], v[4:5], v[12:13]
	v_add_f64 v[6:7], v[6:7], v[14:15]
	v_mul_f64 v[12:13], v[52:53], s[28:29]
	v_mul_f64 v[14:15], v[54:55], s[28:29]
	v_add_f64 v[60:61], v[108:109], v[60:61]
	v_add_f64 v[62:63], v[110:111], v[62:63]
	v_add_f64 v[108:109], v[116:117], v[112:113]
	v_add_f64 v[110:111], v[118:119], v[114:115]
	v_fma_f64 v[16:17], v[16:17], s[14:15], v[56:57]
	v_fma_f64 v[18:19], v[18:19], s[14:15], -v[58:59]
	v_mul_f64 v[56:57], v[52:53], s[30:31]
	v_mul_f64 v[58:59], v[54:55], s[30:31]
	v_fma_f64 v[112:113], v[4:5], s[0:1], -v[12:13]
	v_fma_f64 v[114:115], v[6:7], s[0:1], v[14:15]
	v_fma_f64 v[12:13], v[4:5], s[0:1], v[12:13]
	v_fma_f64 v[14:15], v[6:7], s[0:1], -v[14:15]
	v_add_f64 v[116:117], v[16:17], v[24:25]
	v_add_f64 v[118:119], v[18:19], v[26:27]
	v_fma_f64 v[24:25], v[4:5], s[4:5], -v[56:57]
	v_fma_f64 v[26:27], v[6:7], s[4:5], v[58:59]
	v_add_f64 v[125:126], v[112:113], v[36:37]
	v_add_f64 v[36:37], v[68:69], v[104:105]
	;; [unrolled: 1-line block ×4, first 2 shown]
	v_mul_f64 v[12:13], v[52:53], s[24:25]
	v_mul_f64 v[14:15], v[54:55], s[24:25]
	v_add_f64 v[129:130], v[24:25], v[28:29]
	v_add_f64 v[131:132], v[26:27], v[30:31]
	v_fma_f64 v[20:21], v[4:5], s[4:5], v[56:57]
	v_fma_f64 v[22:23], v[6:7], s[4:5], -v[58:59]
	v_mul_f64 v[24:25], v[52:53], s[36:37]
	v_mul_f64 v[26:27], v[54:55], s[36:37]
	v_fma_f64 v[28:29], v[4:5], s[20:21], -v[12:13]
	v_fma_f64 v[30:31], v[6:7], s[20:21], v[14:15]
	v_fma_f64 v[12:13], v[4:5], s[20:21], v[12:13]
	v_fma_f64 v[14:15], v[6:7], s[20:21], -v[14:15]
	v_add_f64 v[133:134], v[20:21], v[32:33]
	v_add_f64 v[135:136], v[22:23], v[34:35]
	v_fma_f64 v[20:21], v[4:5], s[14:15], -v[24:25]
	v_fma_f64 v[22:23], v[6:7], s[14:15], v[26:27]
	v_add_f64 v[137:138], v[28:29], v[40:41]
	v_add_f64 v[139:140], v[30:31], v[42:43]
	;; [unrolled: 1-line block ×4, first 2 shown]
	v_mul_f64 v[12:13], v[52:53], s[22:23]
	v_mul_f64 v[14:15], v[54:55], s[22:23]
	v_add_f64 v[28:29], v[70:71], -v[106:107]
	v_add_f64 v[30:31], v[68:69], -v[104:105]
	v_fma_f64 v[24:25], v[4:5], s[14:15], v[24:25]
	v_fma_f64 v[26:27], v[6:7], s[14:15], -v[26:27]
	v_add_f64 v[40:41], v[70:71], v[106:107]
	v_add_f64 v[127:128], v[114:115], v[38:39]
	v_fma_f64 v[32:33], v[4:5], s[18:19], -v[12:13]
	v_fma_f64 v[34:35], v[6:7], s[18:19], v[14:15]
	v_mul_f64 v[38:39], v[28:29], s[24:25]
	v_mul_f64 v[42:43], v[30:31], s[24:25]
	v_add_f64 v[149:150], v[24:25], v[60:61]
	v_add_f64 v[151:152], v[26:27], v[62:63]
	v_mul_f64 v[24:25], v[28:29], s[34:35]
	v_mul_f64 v[26:27], v[30:31], s[34:35]
	v_add_f64 v[153:154], v[32:33], v[108:109]
	v_add_f64 v[155:156], v[34:35], v[110:111]
	;; [unrolled: 1-line block ×3, first 2 shown]
	v_mul_f64 v[20:21], v[28:29], s[26:27]
	v_fma_f64 v[4:5], v[4:5], s[18:19], v[12:13]
	v_add_f64 v[60:61], v[74:75], -v[102:103]
	v_fma_f64 v[32:33], v[36:37], s[14:15], v[24:25]
	v_fma_f64 v[34:35], v[40:41], s[14:15], -v[26:27]
	v_add_f64 v[147:148], v[22:23], v[46:47]
	v_mul_f64 v[22:23], v[30:31], s[26:27]
	v_fma_f64 v[6:7], v[6:7], s[18:19], -v[14:15]
	v_fma_f64 v[12:13], v[36:37], s[4:5], v[20:21]
	v_add_f64 v[157:158], v[4:5], v[116:117]
	v_mul_f64 v[4:5], v[28:29], s[22:23]
	v_add_f64 v[48:49], v[0:1], v[32:33]
	v_add_f64 v[50:51], v[2:3], v[34:35]
	v_fma_f64 v[32:33], v[36:37], s[20:21], -v[38:39]
	v_fma_f64 v[34:35], v[40:41], s[20:21], v[42:43]
	v_mul_f64 v[52:53], v[28:29], s[28:29]
	v_mul_f64 v[54:55], v[30:31], s[28:29]
	v_add_f64 v[62:63], v[72:73], -v[100:101]
	v_mul_f64 v[28:29], v[60:61], s[34:35]
	v_fma_f64 v[14:15], v[40:41], s[4:5], -v[22:23]
	v_add_f64 v[159:160], v[6:7], v[118:119]
	v_add_f64 v[56:57], v[0:1], v[32:33]
	;; [unrolled: 1-line block ×3, first 2 shown]
	v_fma_f64 v[32:33], v[36:37], s[20:21], v[38:39]
	v_add_f64 v[34:35], v[72:73], v[100:101]
	v_mul_f64 v[6:7], v[30:31], s[22:23]
	v_add_f64 v[12:13], v[0:1], v[12:13]
	v_fma_f64 v[42:43], v[40:41], s[20:21], -v[42:43]
	v_fma_f64 v[110:111], v[40:41], s[0:1], v[54:55]
	v_add_f64 v[38:39], v[74:75], v[102:103]
	v_mul_f64 v[30:31], v[62:63], s[34:35]
	v_add_f64 v[112:113], v[0:1], v[32:33]
	v_fma_f64 v[54:55], v[40:41], s[0:1], -v[54:55]
	v_fma_f64 v[116:117], v[34:35], s[14:15], v[28:29]
	v_mul_f64 v[32:33], v[60:61], s[24:25]
	v_add_f64 v[14:15], v[2:3], v[14:15]
	v_fma_f64 v[46:47], v[40:41], s[18:19], v[6:7]
	v_fma_f64 v[6:7], v[40:41], s[18:19], -v[6:7]
	v_fma_f64 v[108:109], v[36:37], s[0:1], -v[52:53]
	v_add_f64 v[114:115], v[2:3], v[42:43]
	v_fma_f64 v[52:53], v[36:37], s[0:1], v[52:53]
	v_fma_f64 v[118:119], v[38:39], s[14:15], -v[30:31]
	v_mul_f64 v[42:43], v[62:63], s[24:25]
	v_add_f64 v[122:123], v[2:3], v[54:55]
	v_mul_f64 v[54:55], v[62:63], s[40:41]
	v_add_f64 v[12:13], v[116:117], v[12:13]
	v_fma_f64 v[116:117], v[34:35], s[20:21], v[32:33]
	v_mul_f64 v[161:162], v[60:61], s[38:39]
	v_fma_f64 v[44:45], v[36:37], s[18:19], -v[4:5]
	v_fma_f64 v[4:5], v[36:37], s[18:19], v[4:5]
	v_add_f64 v[6:7], v[2:3], v[6:7]
	v_add_f64 v[120:121], v[0:1], v[52:53]
	v_mul_f64 v[52:53], v[60:61], s[40:41]
	v_add_f64 v[14:15], v[118:119], v[14:15]
	v_fma_f64 v[118:119], v[38:39], s[20:21], -v[42:43]
	v_mul_f64 v[163:164], v[62:63], s[38:39]
	v_fma_f64 v[167:168], v[38:39], s[0:1], v[54:55]
	v_fma_f64 v[54:55], v[38:39], s[0:1], -v[54:55]
	v_add_f64 v[116:117], v[116:117], v[48:49]
	v_fma_f64 v[48:49], v[34:35], s[18:19], -v[161:162]
	v_add_f64 v[44:45], v[0:1], v[44:45]
	v_add_f64 v[46:47], v[2:3], v[46:47]
	;; [unrolled: 1-line block ×3, first 2 shown]
	v_fma_f64 v[165:166], v[34:35], s[0:1], -v[52:53]
	v_fma_f64 v[52:53], v[34:35], s[0:1], v[52:53]
	v_add_f64 v[118:119], v[118:119], v[50:51]
	v_fma_f64 v[50:51], v[38:39], s[18:19], v[163:164]
	v_add_f64 v[6:7], v[54:55], v[6:7]
	v_mul_f64 v[54:55], v[60:61], s[30:31]
	v_mul_f64 v[60:61], v[62:63], s[30:31]
	v_add_f64 v[56:57], v[48:49], v[56:57]
	v_add_f64 v[62:63], v[78:79], -v[98:99]
	v_add_f64 v[169:170], v[76:77], -v[96:97]
	v_fma_f64 v[48:49], v[34:35], s[18:19], v[161:162]
	v_fma_f64 v[161:162], v[38:39], s[18:19], -v[163:164]
	v_add_f64 v[108:109], v[0:1], v[108:109]
	v_add_f64 v[110:111], v[2:3], v[110:111]
	;; [unrolled: 1-line block ×6, first 2 shown]
	v_fma_f64 v[163:164], v[34:35], s[4:5], -v[54:55]
	v_fma_f64 v[171:172], v[38:39], s[4:5], v[60:61]
	v_add_f64 v[50:51], v[76:77], v[96:97]
	v_add_f64 v[52:53], v[78:79], v[98:99]
	v_mul_f64 v[44:45], v[62:63], s[22:23]
	v_mul_f64 v[46:47], v[169:170], s[22:23]
	v_add_f64 v[114:115], v[161:162], v[114:115]
	v_fma_f64 v[161:162], v[34:35], s[4:5], v[54:55]
	v_fma_f64 v[60:61], v[38:39], s[4:5], -v[60:61]
	v_add_f64 v[112:113], v[48:49], v[112:113]
	v_add_f64 v[163:164], v[163:164], v[108:109]
	;; [unrolled: 1-line block ×3, first 2 shown]
	v_fma_f64 v[108:109], v[50:51], s[18:19], v[44:45]
	v_fma_f64 v[171:172], v[52:53], s[18:19], -v[46:47]
	v_mul_f64 v[48:49], v[62:63], s[40:41]
	v_mul_f64 v[54:55], v[169:170], s[40:41]
	v_add_f64 v[120:121], v[161:162], v[120:121]
	v_add_f64 v[122:123], v[60:61], v[122:123]
	v_mul_f64 v[60:61], v[62:63], s[36:37]
	v_mul_f64 v[161:162], v[169:170], s[36:37]
	v_add_f64 v[12:13], v[108:109], v[12:13]
	v_add_f64 v[14:15], v[171:172], v[14:15]
	v_fma_f64 v[108:109], v[50:51], s[0:1], v[48:49]
	v_fma_f64 v[171:172], v[52:53], s[0:1], -v[54:55]
	v_mul_f64 v[173:174], v[62:63], s[26:27]
	v_mul_f64 v[175:176], v[169:170], s[26:27]
	v_fma_f64 v[177:178], v[50:51], s[14:15], -v[60:61]
	v_fma_f64 v[179:180], v[52:53], s[14:15], v[161:162]
	v_fma_f64 v[60:61], v[50:51], s[14:15], v[60:61]
	v_fma_f64 v[161:162], v[52:53], s[14:15], -v[161:162]
	v_add_f64 v[116:117], v[108:109], v[116:117]
	v_add_f64 v[118:119], v[171:172], v[118:119]
	v_fma_f64 v[108:109], v[50:51], s[4:5], -v[173:174]
	v_fma_f64 v[171:172], v[52:53], s[4:5], v[175:176]
	v_add_f64 v[165:166], v[177:178], v[165:166]
	v_add_f64 v[167:168], v[179:180], v[167:168]
	;; [unrolled: 1-line block ×4, first 2 shown]
	v_mul_f64 v[60:61], v[62:63], s[24:25]
	v_mul_f64 v[161:162], v[169:170], s[24:25]
	v_add_f64 v[177:178], v[82:83], -v[94:95]
	v_add_f64 v[179:180], v[80:81], -v[92:93]
	v_add_f64 v[169:170], v[108:109], v[56:57]
	v_add_f64 v[171:172], v[171:172], v[58:59]
	v_fma_f64 v[173:174], v[50:51], s[4:5], v[173:174]
	v_fma_f64 v[175:176], v[52:53], s[4:5], -v[175:176]
	v_fma_f64 v[181:182], v[50:51], s[20:21], -v[60:61]
	v_fma_f64 v[183:184], v[52:53], s[20:21], v[161:162]
	v_add_f64 v[62:63], v[80:81], v[92:93]
	v_add_f64 v[108:109], v[82:83], v[94:95]
	v_mul_f64 v[56:57], v[177:178], s[24:25]
	v_mul_f64 v[58:59], v[179:180], s[24:25]
	v_add_f64 v[112:113], v[173:174], v[112:113]
	v_add_f64 v[114:115], v[175:176], v[114:115]
	;; [unrolled: 1-line block ×4, first 2 shown]
	v_fma_f64 v[175:176], v[50:51], s[20:21], v[60:61]
	v_fma_f64 v[161:162], v[52:53], s[20:21], -v[161:162]
	v_fma_f64 v[181:182], v[62:63], s[20:21], v[56:57]
	v_fma_f64 v[183:184], v[108:109], s[20:21], -v[58:59]
	v_mul_f64 v[60:61], v[177:178], s[38:39]
	v_mul_f64 v[110:111], v[179:180], s[38:39]
	;; [unrolled: 1-line block ×4, first 2 shown]
	v_add_f64 v[175:176], v[175:176], v[120:121]
	v_add_f64 v[161:162], v[161:162], v[122:123]
	;; [unrolled: 1-line block ×4, first 2 shown]
	v_fma_f64 v[120:121], v[62:63], s[18:19], v[60:61]
	v_fma_f64 v[122:123], v[108:109], s[18:19], -v[110:111]
	v_fma_f64 v[181:182], v[62:63], s[4:5], -v[185:186]
	v_fma_f64 v[183:184], v[108:109], s[4:5], v[187:188]
	v_mul_f64 v[189:190], v[177:178], s[28:29]
	v_mul_f64 v[191:192], v[179:180], s[28:29]
	v_fma_f64 v[185:186], v[62:63], s[4:5], v[185:186]
	v_fma_f64 v[187:188], v[108:109], s[4:5], -v[187:188]
	v_add_f64 v[193:194], v[120:121], v[116:117]
	v_add_f64 v[195:196], v[122:123], v[118:119]
	;; [unrolled: 1-line block ×4, first 2 shown]
	v_fma_f64 v[116:117], v[62:63], s[0:1], -v[189:190]
	v_fma_f64 v[118:119], v[108:109], s[0:1], v[191:192]
	v_add_f64 v[181:182], v[185:186], v[4:5]
	v_add_f64 v[183:184], v[187:188], v[6:7]
	v_mul_f64 v[4:5], v[177:178], s[36:37]
	v_mul_f64 v[6:7], v[179:180], s[36:37]
	v_fma_f64 v[120:121], v[62:63], s[0:1], v[189:190]
	v_add_f64 v[177:178], v[86:87], -v[90:91]
	v_fma_f64 v[122:123], v[108:109], s[0:1], -v[191:192]
	v_add_f64 v[179:180], v[84:85], -v[88:89]
	v_add_f64 v[169:170], v[116:117], v[169:170]
	v_add_f64 v[171:172], v[118:119], v[171:172]
	v_fma_f64 v[116:117], v[62:63], s[14:15], -v[4:5]
	v_fma_f64 v[185:186], v[108:109], s[14:15], v[6:7]
	v_add_f64 v[187:188], v[120:121], v[112:113]
	v_add_f64 v[118:119], v[84:85], v[88:89]
	v_mul_f64 v[112:113], v[177:178], s[28:29]
	v_fma_f64 v[4:5], v[62:63], s[14:15], v[4:5]
	v_mul_f64 v[197:198], v[177:178], s[24:25]
	v_add_f64 v[189:190], v[122:123], v[114:115]
	v_add_f64 v[120:121], v[86:87], v[90:91]
	v_mul_f64 v[114:115], v[179:180], s[28:29]
	v_fma_f64 v[6:7], v[108:109], s[14:15], -v[6:7]
	v_mul_f64 v[199:200], v[179:180], s[24:25]
	v_add_f64 v[173:174], v[185:186], v[173:174]
	v_fma_f64 v[185:186], v[118:119], s[0:1], v[112:113]
	v_add_f64 v[175:176], v[4:5], v[175:176]
	v_fma_f64 v[4:5], v[118:119], s[20:21], -v[197:198]
	v_add_f64 v[163:164], v[116:117], v[163:164]
	v_fma_f64 v[191:192], v[120:121], s[0:1], -v[114:115]
	v_add_f64 v[161:162], v[6:7], v[161:162]
	v_fma_f64 v[6:7], v[120:121], s[20:21], v[199:200]
	v_mul_f64 v[116:117], v[177:178], s[30:31]
	v_add_f64 v[205:206], v[185:186], v[12:13]
	v_fma_f64 v[12:13], v[118:119], s[20:21], v[197:198]
	v_mul_f64 v[185:186], v[177:178], s[36:37]
	v_add_f64 v[4:5], v[4:5], v[165:166]
	v_mul_f64 v[165:166], v[177:178], s[22:23]
	v_mul_f64 v[122:123], v[179:180], s[30:31]
	v_add_f64 v[207:208], v[191:192], v[14:15]
	v_fma_f64 v[14:15], v[120:121], s[20:21], -v[199:200]
	v_mul_f64 v[191:192], v[179:180], s[36:37]
	v_add_f64 v[6:7], v[6:7], v[167:168]
	v_mul_f64 v[167:168], v[179:180], s[22:23]
	v_fma_f64 v[201:202], v[118:119], s[4:5], v[116:117]
	v_add_f64 v[197:198], v[12:13], v[181:182]
	v_fma_f64 v[12:13], v[118:119], s[14:15], -v[185:186]
	v_fma_f64 v[177:178], v[118:119], s[14:15], v[185:186]
	v_fma_f64 v[181:182], v[118:119], s[18:19], -v[165:166]
	v_fma_f64 v[203:204], v[120:121], s[4:5], -v[122:123]
	v_add_f64 v[199:200], v[14:15], v[183:184]
	v_fma_f64 v[14:15], v[120:121], s[14:15], v[191:192]
	v_fma_f64 v[179:180], v[120:121], s[14:15], -v[191:192]
	v_fma_f64 v[183:184], v[120:121], s[18:19], v[167:168]
	v_fma_f64 v[165:166], v[118:119], s[18:19], v[165:166]
	v_fma_f64 v[167:168], v[120:121], s[18:19], -v[167:168]
	v_add_f64 v[193:194], v[201:202], v[193:194]
	v_add_f64 v[12:13], v[12:13], v[169:170]
	;; [unrolled: 1-line block ×10, first 2 shown]
	v_mul_lo_u16_e32 v67, 11, v215
	v_lshlrev_b32_e32 v124, 4, v67
	s_waitcnt lgkmcnt(0)
	s_barrier
	ds_write_b128 v124, v[8:11]
	ds_write_b128 v124, v[125:128] offset:16
	ds_write_b128 v124, v[129:132] offset:32
	;; [unrolled: 1-line block ×6, first 2 shown]
	v_mov_b32_e32 v160, v177
	v_mov_b32_e32 v156, v169
	ds_write_b128 v124, v[149:152] offset:112
	v_mov_b32_e32 v152, v197
	v_mov_b32_e32 v148, v193
	ds_write_b128 v124, v[141:144] offset:128
	v_mov_b32_e32 v144, v205
	v_mov_b32_e32 v161, v178
	v_mov_b32_e32 v162, v179
	v_mov_b32_e32 v163, v180
	v_mov_b32_e32 v157, v170
	v_mov_b32_e32 v158, v171
	v_mov_b32_e32 v159, v172
	v_mov_b32_e32 v153, v198
	v_mov_b32_e32 v154, v199
	v_mov_b32_e32 v155, v200
	v_mov_b32_e32 v149, v194
	v_mov_b32_e32 v150, v195
	v_mov_b32_e32 v151, v196
	v_mov_b32_e32 v145, v206
	v_mov_b32_e32 v146, v207
	v_mov_b32_e32 v147, v208
	v_mul_u32_u24_e32 v139, 11, v214
	ds_write_b128 v124, v[133:136] offset:144
	ds_write_b128 v124, v[16:19] offset:160
	s_and_saveexec_b64 s[22:23], vcc
	s_cbranch_execz .LBB0_7
; %bb.6:
	v_mul_f64 v[8:9], v[40:41], s[14:15]
	v_mul_f64 v[16:17], v[40:41], s[4:5]
	;; [unrolled: 1-line block ×3, first 2 shown]
	v_add_f64 v[70:71], v[2:3], v[70:71]
	v_add_f64 v[67:68], v[0:1], v[68:69]
	v_mul_f64 v[10:11], v[36:37], s[4:5]
	v_mul_f64 v[18:19], v[36:37], s[14:15]
	;; [unrolled: 1-line block ×3, first 2 shown]
	v_add_f64 v[8:9], v[26:27], v[8:9]
	v_mul_f64 v[26:27], v[38:39], s[14:15]
	v_add_f64 v[40:41], v[42:43], v[40:41]
	v_add_f64 v[42:43], v[70:71], v[74:75]
	;; [unrolled: 1-line block ×4, first 2 shown]
	v_add_f64 v[10:11], v[10:11], -v[20:21]
	v_mul_f64 v[34:35], v[34:35], s[20:21]
	v_add_f64 v[18:19], v[18:19], -v[24:25]
	v_mul_f64 v[125:126], v[52:53], s[0:1]
	v_add_f64 v[8:9], v[2:3], v[8:9]
	v_add_f64 v[42:43], v[42:43], v[78:79]
	;; [unrolled: 1-line block ×3, first 2 shown]
	v_mul_f64 v[52:53], v[52:53], s[18:19]
	v_add_f64 v[26:27], v[30:31], v[26:27]
	v_add_f64 v[2:3], v[2:3], v[16:17]
	v_mul_f64 v[38:39], v[50:51], s[18:19]
	v_add_f64 v[16:17], v[36:37], -v[28:29]
	v_add_f64 v[10:11], v[0:1], v[10:11]
	v_add_f64 v[42:43], v[42:43], v[82:83]
	v_add_f64 v[67:68], v[67:68], v[80:81]
	v_mul_f64 v[50:51], v[50:51], s[0:1]
	v_add_f64 v[24:25], v[34:35], -v[32:33]
	v_add_f64 v[0:1], v[0:1], v[18:19]
	v_add_f64 v[54:55], v[54:55], v[125:126]
	;; [unrolled: 1-line block ×3, first 2 shown]
	v_mul_f64 v[40:41], v[108:109], s[20:21]
	v_add_f64 v[20:21], v[42:43], v[86:87]
	v_add_f64 v[22:23], v[67:68], v[84:85]
	v_add_f64 v[28:29], v[46:47], v[52:53]
	v_add_f64 v[2:3], v[26:27], v[2:3]
	v_mul_f64 v[69:70], v[62:63], s[20:21]
	v_mul_f64 v[71:72], v[108:109], s[18:19]
	v_add_f64 v[26:27], v[38:39], -v[44:45]
	v_add_f64 v[10:11], v[16:17], v[10:11]
	v_add_f64 v[20:21], v[20:21], v[90:91]
	;; [unrolled: 1-line block ×3, first 2 shown]
	v_mul_f64 v[62:63], v[62:63], s[18:19]
	v_add_f64 v[18:19], v[50:51], -v[48:49]
	v_add_f64 v[0:1], v[24:25], v[0:1]
	v_add_f64 v[8:9], v[54:55], v[8:9]
	v_mul_f64 v[54:55], v[120:121], s[0:1]
	v_add_f64 v[24:25], v[58:59], v[40:41]
	v_add_f64 v[20:21], v[20:21], v[94:95]
	;; [unrolled: 1-line block ×4, first 2 shown]
	v_mul_f64 v[73:74], v[120:121], s[4:5]
	v_mul_f64 v[75:76], v[118:119], s[0:1]
	v_add_f64 v[71:72], v[110:111], v[71:72]
	v_add_f64 v[28:29], v[69:70], -v[56:57]
	v_add_f64 v[10:11], v[26:27], v[10:11]
	v_add_f64 v[20:21], v[20:21], v[98:99]
	;; [unrolled: 1-line block ×3, first 2 shown]
	v_mul_f64 v[77:78], v[118:119], s[4:5]
	v_add_f64 v[16:17], v[62:63], -v[60:61]
	v_add_f64 v[0:1], v[18:19], v[0:1]
	v_add_f64 v[18:19], v[114:115], v[54:55]
	;; [unrolled: 1-line block ×7, first 2 shown]
	v_add_f64 v[30:31], v[75:76], -v[112:113]
	v_add_f64 v[28:29], v[28:29], v[10:11]
	v_add_f64 v[26:27], v[77:78], -v[116:117]
	v_add_f64 v[0:1], v[16:17], v[0:1]
	v_add_f64 v[10:11], v[18:19], v[24:25]
	v_add_f64 v[18:19], v[20:21], v[106:107]
	v_add_f64 v[16:17], v[22:23], v[104:105]
	v_add_f64 v[2:3], v[73:74], v[8:9]
	v_lshlrev_b32_e32 v20, 4, v139
	v_add_f64 v[8:9], v[30:31], v[28:29]
	v_add_f64 v[0:1], v[26:27], v[0:1]
	ds_write_b128 v20, v[16:19]
	ds_write_b128 v20, v[8:11] offset:16
	ds_write_b128 v20, v[0:3] offset:32
	ds_write_b128 v20, v[4:7] offset:48
	ds_write_b128 v20, v[12:15] offset:64
	ds_write_b128 v20, v[156:159] offset:80
	ds_write_b128 v20, v[164:167] offset:96
	ds_write_b128 v20, v[160:163] offset:112
	ds_write_b128 v20, v[152:155] offset:128
	ds_write_b128 v20, v[148:151] offset:144
	ds_write_b128 v20, v[144:147] offset:160
.LBB0_7:
	s_or_b64 exec, exec, s[22:23]
	s_waitcnt lgkmcnt(0)
	s_barrier
	ds_read_b128 v[28:31], v66
	ds_read_b128 v[32:35], v66 offset:1760
	ds_read_b128 v[36:39], v66 offset:14960
	;; [unrolled: 1-line block ×13, first 2 shown]
	v_cmp_gt_u16_e64 s[0:1], 55, v215
	s_and_saveexec_b64 s[4:5], s[0:1]
	s_cbranch_execz .LBB0_9
; %bb.8:
	ds_read_b128 v[4:7], v66 offset:12320
	ds_read_b128 v[12:15], v66 offset:25520
.LBB0_9:
	s_or_b64 exec, exec, s[4:5]
	s_movk_i32 s4, 0xdc
	v_add_co_u32_e64 v224, s[4:5], s4, v215
	s_movk_i32 s22, 0x14a
	v_addc_co_u32_e64 v225, s[4:5], 0, 0, s[4:5]
	v_add_co_u32_e64 v45, s[4:5], s22, v215
	s_movk_i32 s4, 0x1b8
	v_add_co_u32_e64 v44, s[4:5], s4, v215
	s_movk_i32 s4, 0x226
	;; [unrolled: 2-line block ×4, first 2 shown]
	v_mul_lo_u16_sdwa v46, v215, s4 dst_sel:DWORD dst_unused:UNUSED_PAD src0_sel:BYTE_0 src1_sel:DWORD
	v_sub_u16_sdwa v47, v215, v46 dst_sel:DWORD dst_unused:UNUSED_PAD src0_sel:DWORD src1_sel:BYTE_1
	v_lshrrev_b16_e32 v47, 1, v47
	v_and_b32_e32 v47, 0x7f, v47
	v_add_u16_sdwa v46, v47, v46 dst_sel:DWORD dst_unused:UNUSED_PAD src0_sel:DWORD src1_sel:BYTE_1
	v_lshrrev_b16_e32 v63, 3, v46
	v_mul_lo_u16_e32 v46, 11, v63
	v_sub_u16_e32 v46, v215, v46
	v_and_b32_e32 v86, 0xff, v46
	v_mul_lo_u16_sdwa v46, v214, s4 dst_sel:DWORD dst_unused:UNUSED_PAD src0_sel:BYTE_0 src1_sel:DWORD
	v_sub_u16_sdwa v47, v214, v46 dst_sel:DWORD dst_unused:UNUSED_PAD src0_sel:DWORD src1_sel:BYTE_1
	v_lshrrev_b16_e32 v47, 1, v47
	v_and_b32_e32 v47, 0x7f, v47
	v_add_u16_sdwa v46, v47, v46 dst_sel:DWORD dst_unused:UNUSED_PAD src0_sel:DWORD src1_sel:BYTE_1
	s_mov_b32 s4, 0xba2f
	v_lshrrev_b16_e32 v87, 3, v46
	v_mul_u32_u24_sdwa v48, v224, s4 dst_sel:DWORD dst_unused:UNUSED_PAD src0_sel:WORD_0 src1_sel:DWORD
	v_mul_lo_u16_e32 v46, 11, v87
	v_lshrrev_b32_e32 v88, 19, v48
	v_mul_u32_u24_sdwa v47, v45, s4 dst_sel:DWORD dst_unused:UNUSED_PAD src0_sel:WORD_0 src1_sel:DWORD
	v_sub_u16_e32 v52, v214, v46
	v_mul_lo_u16_e32 v46, 11, v88
	v_lshrrev_b32_e32 v90, 19, v47
	v_sub_u16_e32 v89, v224, v46
	v_mul_lo_u16_e32 v53, 11, v90
	v_lshlrev_b32_e32 v46, 4, v89
	v_sub_u16_e32 v91, v45, v53
	v_lshlrev_b32_e32 v53, 4, v91
	global_load_dwordx4 v[177:180], v46, s[12:13]
	global_load_dwordx4 v[173:176], v53, s[12:13]
	v_mul_u32_u24_sdwa v46, v44, s4 dst_sel:DWORD dst_unused:UNUSED_PAD src0_sel:WORD_0 src1_sel:DWORD
	v_mul_u32_u24_sdwa v54, v49, s4 dst_sel:DWORD dst_unused:UNUSED_PAD src0_sel:WORD_0 src1_sel:DWORD
	v_lshrrev_b32_e32 v100, 19, v46
	v_lshrrev_b32_e32 v102, 19, v54
	v_mul_lo_u16_e32 v53, 11, v100
	v_mul_lo_u16_e32 v54, 11, v102
	v_sub_u16_e32 v101, v44, v53
	v_sub_u16_e32 v103, v49, v54
	v_lshlrev_b32_e32 v53, 4, v101
	v_lshlrev_b32_e32 v49, 4, v103
	global_load_dwordx4 v[185:188], v53, s[12:13]
	global_load_dwordx4 v[140:143], v49, s[12:13]
	v_mul_u32_u24_sdwa v49, v50, s4 dst_sel:DWORD dst_unused:UNUSED_PAD src0_sel:WORD_0 src1_sel:DWORD
	v_lshrrev_b32_e32 v104, 19, v49
	v_mul_lo_u16_e32 v49, 11, v104
	v_sub_u16_e32 v105, v50, v49
	v_lshlrev_b32_e32 v51, 4, v86
	v_lshlrev_b32_e32 v49, 4, v105
	v_and_b32_e32 v106, 0xff, v52
	global_load_dwordx4 v[181:184], v49, s[12:13]
	global_load_dwordx4 v[125:128], v51, s[12:13]
	v_lshlrev_b32_e32 v49, 4, v106
	global_load_dwordx4 v[116:119], v49, s[12:13]
	v_add_u16_e32 v49, 0x302, v215
	v_mul_u32_u24_e32 v50, 0xba2f, v49
	v_lshrrev_b32_e32 v123, 19, v50
	v_mul_lo_u16_e32 v50, 11, v123
	v_sub_u16_e32 v168, v49, v50
	v_lshlrev_b32_e32 v49, 4, v168
	global_load_dwordx4 v[169:172], v49, s[12:13]
	s_waitcnt vmcnt(7) lgkmcnt(10)
	v_mul_f64 v[49:50], v[70:71], v[179:180]
	v_mul_f64 v[51:52], v[68:69], v[179:180]
	s_waitcnt vmcnt(6) lgkmcnt(7)
	v_mul_f64 v[53:54], v[98:99], v[175:176]
	v_mul_f64 v[55:56], v[96:97], v[175:176]
	v_fma_f64 v[49:50], v[68:69], v[177:178], -v[49:50]
	v_fma_f64 v[51:52], v[70:71], v[177:178], v[51:52]
	v_fma_f64 v[53:54], v[96:97], v[173:174], -v[53:54]
	s_waitcnt vmcnt(5) lgkmcnt(6)
	v_mul_f64 v[57:58], v[42:43], v[187:188]
	v_mul_f64 v[59:60], v[40:41], v[187:188]
	s_waitcnt vmcnt(4) lgkmcnt(1)
	v_mul_f64 v[61:62], v[110:111], v[142:143]
	v_mul_f64 v[72:73], v[108:109], v[142:143]
	v_fma_f64 v[55:56], v[98:99], v[173:174], v[55:56]
	v_add_f64 v[49:50], v[24:25], -v[49:50]
	v_add_f64 v[51:52], v[26:27], -v[51:52]
	v_fma_f64 v[57:58], v[40:41], v[185:186], -v[57:58]
	s_waitcnt vmcnt(3) lgkmcnt(0)
	v_mul_f64 v[74:75], v[94:95], v[183:184]
	s_waitcnt vmcnt(2)
	v_mul_f64 v[78:79], v[114:115], v[127:128]
	v_mul_f64 v[80:81], v[112:113], v[127:128]
	s_waitcnt vmcnt(1)
	v_mul_f64 v[82:83], v[38:39], v[118:119]
	v_mul_f64 v[84:85], v[36:37], v[118:119]
	;; [unrolled: 1-line block ×3, first 2 shown]
	v_fma_f64 v[59:60], v[42:43], v[185:186], v[59:60]
	v_fma_f64 v[61:62], v[108:109], v[140:141], -v[61:62]
	v_fma_f64 v[71:72], v[110:111], v[140:141], v[72:73]
	v_fma_f64 v[67:68], v[112:113], v[125:126], -v[78:79]
	buffer_store_dword v125, off, s[44:47], 0 offset:252 ; 4-byte Folded Spill
	s_nop 0
	buffer_store_dword v126, off, s[44:47], 0 offset:256 ; 4-byte Folded Spill
	buffer_store_dword v127, off, s[44:47], 0 offset:260 ; 4-byte Folded Spill
	;; [unrolled: 1-line block ×3, first 2 shown]
	v_fma_f64 v[78:79], v[36:37], v[116:117], -v[82:83]
	buffer_store_dword v116, off, s[44:47], 0 offset:236 ; 4-byte Folded Spill
	s_nop 0
	buffer_store_dword v117, off, s[44:47], 0 offset:240 ; 4-byte Folded Spill
	buffer_store_dword v118, off, s[44:47], 0 offset:244 ; 4-byte Folded Spill
	;; [unrolled: 1-line block ×3, first 2 shown]
	s_waitcnt vmcnt(8)
	v_mul_f64 v[82:83], v[14:15], v[171:172]
	v_fma_f64 v[73:74], v[92:93], v[181:182], -v[74:75]
	v_fma_f64 v[75:76], v[94:95], v[181:182], v[76:77]
	v_fma_f64 v[24:25], v[24:25], 2.0, -v[49:50]
	v_add_f64 v[36:37], v[28:29], -v[67:68]
	v_fma_f64 v[26:27], v[26:27], 2.0, -v[51:52]
	v_add_f64 v[40:41], v[32:33], -v[78:79]
	v_fma_f64 v[77:78], v[12:13], v[169:170], -v[82:83]
	v_add_f64 v[67:68], v[0:1], -v[73:74]
	s_waitcnt vmcnt(0)
	s_barrier
	v_add_f64 v[109:110], v[4:5], -v[77:78]
	v_fma_f64 v[0:1], v[0:1], 2.0, -v[67:68]
	v_fma_f64 v[69:70], v[114:115], v[125:126], v[80:81]
	v_fma_f64 v[80:81], v[38:39], v[116:117], v[84:85]
	v_mul_f64 v[84:85], v[12:13], v[171:172]
	v_fma_f64 v[12:13], v[28:29], 2.0, -v[36:37]
	v_fma_f64 v[28:29], v[32:33], 2.0, -v[40:41]
	v_add_f64 v[32:33], v[8:9], -v[53:54]
	v_add_f64 v[53:54], v[20:21], -v[57:58]
	;; [unrolled: 1-line block ×5, first 2 shown]
	v_fma_f64 v[79:80], v[14:15], v[169:170], v[84:85]
	v_add_f64 v[69:70], v[2:3], -v[75:76]
	v_mul_u32_u24_e32 v61, 22, v63
	v_fma_f64 v[8:9], v[8:9], 2.0, -v[32:33]
	v_fma_f64 v[20:21], v[20:21], 2.0, -v[53:54]
	;; [unrolled: 1-line block ×3, first 2 shown]
	v_add_lshl_u32 v189, v61, v86, 4
	v_fma_f64 v[30:31], v[34:35], 2.0, -v[42:43]
	v_add_f64 v[34:35], v[10:11], -v[55:56]
	v_add_f64 v[55:56], v[22:23], -v[59:60]
	;; [unrolled: 1-line block ×3, first 2 shown]
	v_fma_f64 v[16:17], v[16:17], 2.0, -v[57:58]
	ds_write_b128 v189, v[12:15]
	ds_write_b128 v189, v[36:39] offset:176
	v_mul_u32_u24_e32 v12, 22, v87
	v_add_lshl_u32 v190, v12, v106, 4
	v_fma_f64 v[10:11], v[10:11], 2.0, -v[34:35]
	v_fma_f64 v[22:23], v[22:23], 2.0, -v[55:56]
	;; [unrolled: 1-line block ×3, first 2 shown]
	v_mad_legacy_u16 v12, v88, 22, v89
	v_fma_f64 v[2:3], v[2:3], 2.0, -v[69:70]
	v_add_f64 v[111:112], v[6:7], -v[79:80]
	v_lshlrev_b32_e32 v191, 4, v12
	v_mad_legacy_u16 v12, v90, 22, v91
	v_lshlrev_b32_e32 v12, 4, v12
	ds_write_b128 v190, v[28:31]
	ds_write_b128 v190, v[40:43] offset:176
	ds_write_b128 v191, v[24:27]
	ds_write_b128 v191, v[49:52] offset:176
	ds_write_b128 v12, v[8:11]
	v_mad_legacy_u16 v8, v100, 22, v101
	v_lshlrev_b32_e32 v8, 4, v8
	ds_write_b128 v12, v[32:35] offset:176
	ds_write_b128 v8, v[20:23]
	buffer_store_dword v8, off, s[44:47], 0 offset:192 ; 4-byte Folded Spill
	ds_write_b128 v8, v[53:56] offset:176
	v_mad_legacy_u16 v8, v102, 22, v103
	v_lshlrev_b32_e32 v8, 4, v8
	ds_write_b128 v8, v[16:19]
	buffer_store_dword v8, off, s[44:47], 0 offset:196 ; 4-byte Folded Spill
	ds_write_b128 v8, v[57:60] offset:176
	v_mad_legacy_u16 v8, v104, 22, v105
	v_lshlrev_b32_e32 v8, 4, v8
	buffer_store_dword v12, off, s[44:47], 0 offset:188 ; 4-byte Folded Spill
	ds_write_b128 v8, v[0:3]
	buffer_store_dword v8, off, s[44:47], 0 offset:200 ; 4-byte Folded Spill
	ds_write_b128 v8, v[67:70] offset:176
	s_and_saveexec_b64 s[4:5], s[0:1]
	s_cbranch_execz .LBB0_11
; %bb.10:
	v_fma_f64 v[2:3], v[6:7], 2.0, -v[111:112]
	v_fma_f64 v[0:1], v[4:5], 2.0, -v[109:110]
	v_mad_legacy_u16 v4, v123, 22, v168
	v_lshlrev_b32_e32 v4, 4, v4
	ds_write_b128 v4, v[0:3]
	ds_write_b128 v4, v[109:112] offset:176
.LBB0_11:
	s_or_b64 exec, exec, s[4:5]
	v_lshrrev_b16_e32 v24, 1, v215
	v_and_b32_e32 v24, 0x7f, v24
	v_mul_lo_u16_e32 v24, 0xbb, v24
	v_lshrrev_b16_e32 v24, 11, v24
	v_mul_lo_u16_e32 v25, 22, v24
	v_sub_u16_e32 v25, v215, v25
	v_and_b32_e32 v25, 0xff, v25
	v_mov_b32_e32 v0, s17
	v_lshlrev_b32_e32 v42, 5, v25
	v_addc_co_u32_e64 v58, s[2:3], 0, v0, s[2:3]
	s_waitcnt vmcnt(0) lgkmcnt(0)
	s_barrier
	ds_read_b128 v[16:19], v66
	ds_read_b128 v[20:23], v66 offset:8800
	ds_read_b128 v[26:29], v66 offset:17600
	;; [unrolled: 1-line block ×14, first 2 shown]
	global_load_dwordx4 v[81:84], v42, s[12:13] offset:192
	global_load_dwordx4 v[49:52], v42, s[12:13] offset:176
	s_mov_b32 s5, 0xbfebb67a
	v_mul_u32_u24_e32 v24, 0x42, v24
	v_add_lshl_u32 v24, v24, v25, 4
	s_mov_b32 s16, 0x134454ff
	s_mov_b32 s17, 0x3fee6f0e
	;; [unrolled: 1-line block ×8, first 2 shown]
	s_waitcnt vmcnt(0) lgkmcnt(13)
	v_mul_f64 v[42:43], v[22:23], v[51:52]
	v_fma_f64 v[42:43], v[20:21], v[49:50], -v[42:43]
	v_mul_f64 v[20:21], v[20:21], v[51:52]
	buffer_store_dword v49, off, s[44:47], 0 offset:220 ; 4-byte Folded Spill
	s_nop 0
	buffer_store_dword v50, off, s[44:47], 0 offset:224 ; 4-byte Folded Spill
	buffer_store_dword v51, off, s[44:47], 0 offset:228 ; 4-byte Folded Spill
	;; [unrolled: 1-line block ×3, first 2 shown]
	v_mov_b32_e32 v52, s13
	v_fma_f64 v[49:50], v[22:23], v[49:50], v[20:21]
	s_waitcnt lgkmcnt(12)
	v_mul_f64 v[20:21], v[28:29], v[83:84]
	v_fma_f64 v[79:80], v[26:27], v[81:82], -v[20:21]
	v_mul_f64 v[20:21], v[26:27], v[83:84]
	buffer_store_dword v81, off, s[44:47], 0 offset:204 ; 4-byte Folded Spill
	s_nop 0
	buffer_store_dword v82, off, s[44:47], 0 offset:208 ; 4-byte Folded Spill
	buffer_store_dword v83, off, s[44:47], 0 offset:212 ; 4-byte Folded Spill
	;; [unrolled: 1-line block ×3, first 2 shown]
	v_add_f64 v[22:23], v[42:43], v[79:80]
	v_fma_f64 v[22:23], v[22:23], -0.5, v[16:17]
	v_fma_f64 v[81:82], v[28:29], v[81:82], v[20:21]
	v_mov_b32_e32 v20, 1
	v_lshrrev_b16_sdwa v20, v20, v214 dst_sel:DWORD dst_unused:UNUSED_PAD src0_sel:DWORD src1_sel:BYTE_0
	v_mul_lo_u16_e32 v20, 0xbb, v20
	v_lshrrev_b16_e32 v26, 11, v20
	v_mul_lo_u16_e32 v20, 22, v26
	v_sub_u16_e32 v20, v214, v20
	v_and_b32_e32 v27, 0xff, v20
	v_lshlrev_b32_e32 v20, 5, v27
	global_load_dwordx4 v[89:92], v20, s[12:13] offset:192
	global_load_dwordx4 v[85:88], v20, s[12:13] offset:176
	v_lshrrev_b32_e32 v28, 20, v48
	s_waitcnt vmcnt(0) lgkmcnt(10)
	v_mul_f64 v[20:21], v[32:33], v[87:88]
	v_fma_f64 v[83:84], v[30:31], v[85:86], -v[20:21]
	v_mul_f64 v[20:21], v[30:31], v[87:88]
	buffer_store_dword v85, off, s[44:47], 0 offset:284 ; 4-byte Folded Spill
	s_nop 0
	buffer_store_dword v86, off, s[44:47], 0 offset:288 ; 4-byte Folded Spill
	buffer_store_dword v87, off, s[44:47], 0 offset:292 ; 4-byte Folded Spill
	;; [unrolled: 1-line block ×3, first 2 shown]
	v_fma_f64 v[85:86], v[32:33], v[85:86], v[20:21]
	s_waitcnt lgkmcnt(9)
	v_mul_f64 v[20:21], v[36:37], v[91:92]
	v_fma_f64 v[87:88], v[34:35], v[89:90], -v[20:21]
	v_mul_f64 v[20:21], v[34:35], v[91:92]
	buffer_store_dword v89, off, s[44:47], 0 offset:268 ; 4-byte Folded Spill
	s_nop 0
	buffer_store_dword v90, off, s[44:47], 0 offset:272 ; 4-byte Folded Spill
	buffer_store_dword v91, off, s[44:47], 0 offset:276 ; 4-byte Folded Spill
	;; [unrolled: 1-line block ×3, first 2 shown]
	v_fma_f64 v[89:90], v[36:37], v[89:90], v[20:21]
	v_mul_lo_u16_e32 v20, 22, v28
	v_sub_u16_e32 v29, v224, v20
	v_lshlrev_b16_e32 v20, 5, v29
	v_add_co_u32_e64 v20, s[2:3], s12, v20
	v_addc_co_u32_e64 v21, s[2:3], 0, v52, s[2:3]
	global_load_dwordx4 v[30:33], v[20:21], off offset:192
	global_load_dwordx4 v[34:37], v[20:21], off offset:176
	s_waitcnt vmcnt(0) lgkmcnt(7)
	v_mul_f64 v[20:21], v[40:41], v[36:37]
	v_fma_f64 v[91:92], v[38:39], v[34:35], -v[20:21]
	v_mul_f64 v[20:21], v[38:39], v[36:37]
	buffer_store_dword v34, off, s[44:47], 0 offset:316 ; 4-byte Folded Spill
	s_nop 0
	buffer_store_dword v35, off, s[44:47], 0 offset:320 ; 4-byte Folded Spill
	buffer_store_dword v36, off, s[44:47], 0 offset:324 ; 4-byte Folded Spill
	;; [unrolled: 1-line block ×3, first 2 shown]
	v_fma_f64 v[93:94], v[40:41], v[34:35], v[20:21]
	s_waitcnt lgkmcnt(6)
	v_mul_f64 v[20:21], v[55:56], v[32:33]
	v_fma_f64 v[95:96], v[53:54], v[30:31], -v[20:21]
	v_mul_f64 v[20:21], v[53:54], v[32:33]
	buffer_store_dword v30, off, s[44:47], 0 offset:300 ; 4-byte Folded Spill
	s_nop 0
	buffer_store_dword v31, off, s[44:47], 0 offset:304 ; 4-byte Folded Spill
	buffer_store_dword v32, off, s[44:47], 0 offset:308 ; 4-byte Folded Spill
	;; [unrolled: 1-line block ×3, first 2 shown]
	v_fma_f64 v[55:56], v[55:56], v[30:31], v[20:21]
	v_lshrrev_b32_e32 v30, 20, v47
	v_mul_lo_u16_e32 v20, 22, v30
	v_sub_u16_e32 v31, v45, v20
	v_lshlrev_b16_e32 v20, 5, v31
	v_add_co_u32_e64 v20, s[2:3], s12, v20
	v_addc_co_u32_e64 v21, s[2:3], 0, v52, s[2:3]
	global_load_dwordx4 v[32:35], v[20:21], off offset:192
	global_load_dwordx4 v[36:39], v[20:21], off offset:176
	s_waitcnt vmcnt(0) lgkmcnt(4)
	v_mul_f64 v[20:21], v[61:62], v[38:39]
	v_fma_f64 v[97:98], v[59:60], v[36:37], -v[20:21]
	v_mul_f64 v[20:21], v[59:60], v[38:39]
	buffer_store_dword v36, off, s[44:47], 0 offset:348 ; 4-byte Folded Spill
	s_nop 0
	buffer_store_dword v37, off, s[44:47], 0 offset:352 ; 4-byte Folded Spill
	buffer_store_dword v38, off, s[44:47], 0 offset:356 ; 4-byte Folded Spill
	;; [unrolled: 1-line block ×3, first 2 shown]
	v_fma_f64 v[99:100], v[61:62], v[36:37], v[20:21]
	s_waitcnt lgkmcnt(3)
	v_mul_f64 v[20:21], v[69:70], v[34:35]
	v_fma_f64 v[101:102], v[67:68], v[32:33], -v[20:21]
	v_mul_f64 v[20:21], v[67:68], v[34:35]
	buffer_store_dword v32, off, s[44:47], 0 offset:332 ; 4-byte Folded Spill
	s_nop 0
	buffer_store_dword v33, off, s[44:47], 0 offset:336 ; 4-byte Folded Spill
	buffer_store_dword v34, off, s[44:47], 0 offset:340 ; 4-byte Folded Spill
	;; [unrolled: 1-line block ×3, first 2 shown]
	v_fma_f64 v[69:70], v[69:70], v[32:33], v[20:21]
	v_lshrrev_b32_e32 v32, 20, v46
	v_mul_lo_u16_e32 v20, 22, v32
	v_sub_u16_e32 v33, v44, v20
	v_lshlrev_b16_e32 v20, 5, v33
	v_add_co_u32_e64 v20, s[2:3], s12, v20
	v_addc_co_u32_e64 v21, s[2:3], 0, v52, s[2:3]
	global_load_dwordx4 v[34:37], v[20:21], off offset:192
	global_load_dwordx4 v[38:41], v[20:21], off offset:176
	s_mov_b32 s2, 0xe8584caa
	s_mov_b32 s3, 0x3febb67a
	s_mov_b32 s4, s2
	v_add_f64 v[44:45], v[85:86], v[89:90]
	v_add_f64 v[46:47], v[83:84], -v[87:88]
	v_add_f64 v[61:62], v[99:100], -v[69:70]
	v_fma_f64 v[44:45], v[44:45], -0.5, v[14:15]
	s_waitcnt vmcnt(0) lgkmcnt(1)
	v_mul_f64 v[20:21], v[73:74], v[40:41]
	v_fma_f64 v[103:104], v[71:72], v[38:39], -v[20:21]
	v_mul_f64 v[20:21], v[71:72], v[40:41]
	buffer_store_dword v38, off, s[44:47], 0 offset:380 ; 4-byte Folded Spill
	s_nop 0
	buffer_store_dword v39, off, s[44:47], 0 offset:384 ; 4-byte Folded Spill
	buffer_store_dword v40, off, s[44:47], 0 offset:388 ; 4-byte Folded Spill
	;; [unrolled: 1-line block ×3, first 2 shown]
	v_add_f64 v[40:41], v[83:84], v[87:88]
	v_fma_f64 v[40:41], v[40:41], -0.5, v[12:13]
	v_fma_f64 v[105:106], v[73:74], v[38:39], v[20:21]
	s_waitcnt lgkmcnt(0)
	v_mul_f64 v[20:21], v[77:78], v[36:37]
	v_add_f64 v[38:39], v[42:43], -v[79:80]
	v_fma_f64 v[107:108], v[75:76], v[34:35], -v[20:21]
	v_mul_f64 v[20:21], v[75:76], v[36:37]
	buffer_store_dword v34, off, s[44:47], 0 offset:364 ; 4-byte Folded Spill
	s_nop 0
	buffer_store_dword v35, off, s[44:47], 0 offset:368 ; 4-byte Folded Spill
	buffer_store_dword v36, off, s[44:47], 0 offset:372 ; 4-byte Folded Spill
	;; [unrolled: 1-line block ×3, first 2 shown]
	v_add_f64 v[36:37], v[49:50], v[81:82]
	s_waitcnt vmcnt(0)
	s_barrier
	v_fma_f64 v[36:37], v[36:37], -0.5, v[18:19]
	v_fma_f64 v[77:78], v[77:78], v[34:35], v[20:21]
	v_add_f64 v[34:35], v[49:50], -v[81:82]
	v_add_f64 v[20:21], v[16:17], v[42:43]
	v_add_f64 v[42:43], v[85:86], -v[89:90]
	v_add_f64 v[73:74], v[105:106], -v[77:78]
	v_fma_f64 v[16:17], v[34:35], s[2:3], v[22:23]
	v_fma_f64 v[34:35], v[34:35], s[4:5], v[22:23]
	v_add_f64 v[22:23], v[18:19], v[49:50]
	v_add_f64 v[48:49], v[91:92], v[95:96]
	v_add_f64 v[50:51], v[93:94], -v[55:56]
	v_fma_f64 v[18:19], v[38:39], s[4:5], v[36:37]
	v_fma_f64 v[36:37], v[38:39], s[2:3], v[36:37]
	v_add_f64 v[38:39], v[12:13], v[83:84]
	v_fma_f64 v[12:13], v[42:43], s[2:3], v[40:41]
	v_fma_f64 v[42:43], v[42:43], s[4:5], v[40:41]
	v_add_f64 v[40:41], v[14:15], v[85:86]
	v_fma_f64 v[48:49], v[48:49], -0.5, v[8:9]
	v_fma_f64 v[14:15], v[46:47], s[4:5], v[44:45]
	v_fma_f64 v[44:45], v[46:47], s[2:3], v[44:45]
	v_add_f64 v[46:47], v[8:9], v[91:92]
	v_add_f64 v[20:21], v[20:21], v[79:80]
	;; [unrolled: 1-line block ×5, first 2 shown]
	v_fma_f64 v[8:9], v[50:51], s[2:3], v[48:49]
	v_fma_f64 v[53:54], v[50:51], s[4:5], v[48:49]
	v_add_f64 v[48:49], v[10:11], v[93:94]
	v_add_f64 v[50:51], v[93:94], v[55:56]
	;; [unrolled: 1-line block ×3, first 2 shown]
	ds_write_b128 v24, v[20:23]
	ds_write_b128 v24, v[16:19] offset:352
	v_mul_u32_u24_e32 v16, 0x42, v26
	v_add_lshl_u32 v16, v16, v27, 4
	buffer_store_dword v24, off, s[44:47], 0 offset:396 ; 4-byte Folded Spill
	ds_write_b128 v24, v[34:37] offset:704
	v_add_f64 v[48:49], v[48:49], v[55:56]
	v_fma_f64 v[50:51], v[50:51], -0.5, v[10:11]
	v_add_f64 v[55:56], v[91:92], -v[95:96]
	ds_write_b128 v16, v[38:41]
	ds_write_b128 v16, v[12:15] offset:352
	buffer_store_dword v16, off, s[44:47], 0 offset:400 ; 4-byte Folded Spill
	ds_write_b128 v16, v[42:45] offset:704
	v_fma_f64 v[10:11], v[55:56], s[4:5], v[50:51]
	v_fma_f64 v[55:56], v[55:56], s[2:3], v[50:51]
	v_add_f64 v[50:51], v[4:5], v[97:98]
	v_add_f64 v[59:60], v[50:51], v[101:102]
	;; [unrolled: 1-line block ×3, first 2 shown]
	v_fma_f64 v[50:51], v[50:51], -0.5, v[4:5]
	v_fma_f64 v[4:5], v[61:62], s[2:3], v[50:51]
	v_fma_f64 v[67:68], v[61:62], s[4:5], v[50:51]
	v_add_f64 v[50:51], v[6:7], v[99:100]
	v_add_f64 v[61:62], v[50:51], v[69:70]
	;; [unrolled: 1-line block ×3, first 2 shown]
	v_add_f64 v[69:70], v[97:98], -v[101:102]
	v_fma_f64 v[50:51], v[50:51], -0.5, v[6:7]
	v_fma_f64 v[6:7], v[69:70], s[4:5], v[50:51]
	v_fma_f64 v[69:70], v[69:70], s[2:3], v[50:51]
	v_add_f64 v[50:51], v[0:1], v[103:104]
	v_add_f64 v[71:72], v[50:51], v[107:108]
	;; [unrolled: 1-line block ×3, first 2 shown]
	v_fma_f64 v[50:51], v[50:51], -0.5, v[0:1]
	v_fma_f64 v[0:1], v[73:74], s[2:3], v[50:51]
	v_fma_f64 v[75:76], v[73:74], s[4:5], v[50:51]
	v_add_f64 v[50:51], v[2:3], v[105:106]
	v_add_f64 v[73:74], v[50:51], v[77:78]
	;; [unrolled: 1-line block ×3, first 2 shown]
	v_add_f64 v[77:78], v[103:104], -v[107:108]
	v_fma_f64 v[50:51], v[50:51], -0.5, v[2:3]
	v_fma_f64 v[2:3], v[77:78], s[4:5], v[50:51]
	v_fma_f64 v[77:78], v[77:78], s[2:3], v[50:51]
	s_movk_i32 s2, 0xffbe
	v_add_co_u32_e64 v40, s[2:3], s2, v215
	s_movk_i32 s4, 0x42
	v_addc_co_u32_e64 v41, s[2:3], 0, -1, s[2:3]
	v_mad_legacy_u16 v12, v28, s4, v29
	v_cmp_gt_u16_e64 s[2:3], s4, v215
	v_lshlrev_b32_e32 v12, 4, v12
	v_cndmask_b32_e64 v41, v41, 0, s[2:3]
	v_cndmask_b32_e64 v40, v40, v215, s[2:3]
	ds_write_b128 v12, v[46:49]
	ds_write_b128 v12, v[8:11] offset:352
	v_mad_legacy_u16 v8, v30, s4, v31
	v_lshlrev_b64 v[41:42], 6, v[40:41]
	v_lshlrev_b32_e32 v8, 4, v8
	buffer_store_dword v12, off, s[44:47], 0 offset:404 ; 4-byte Folded Spill
	ds_write_b128 v12, v[53:56] offset:704
	ds_write_b128 v8, v[59:62]
	ds_write_b128 v8, v[4:7] offset:352
	v_mad_legacy_u16 v4, v32, s4, v33
	v_add_co_u32_e64 v41, s[2:3], s12, v41
	v_lshlrev_b32_e32 v4, 4, v4
	v_addc_co_u32_e64 v42, s[2:3], v52, v42, s[2:3]
	buffer_store_dword v8, off, s[44:47], 0 offset:408 ; 4-byte Folded Spill
	ds_write_b128 v8, v[67:70] offset:704
	ds_write_b128 v4, v[71:74]
	ds_write_b128 v4, v[0:3] offset:352
	buffer_store_dword v4, off, s[44:47], 0 offset:412 ; 4-byte Folded Spill
	ds_write_b128 v4, v[75:78] offset:704
	s_waitcnt vmcnt(0) lgkmcnt(0)
	s_barrier
	ds_read_b128 v[8:11], v66
	ds_read_b128 v[28:31], v66 offset:5280
	ds_read_b128 v[32:35], v66 offset:10560
	;; [unrolled: 1-line block ×14, first 2 shown]
	global_load_dwordx4 v[79:82], v[41:42], off offset:928
	global_load_dwordx4 v[83:86], v[41:42], off offset:912
	;; [unrolled: 1-line block ×4, first 2 shown]
	s_movk_i32 s2, 0xf9
	s_mov_b32 s4, 0x372fe950
	s_mov_b32 s5, 0x3fd3c6ef
	s_waitcnt vmcnt(0) lgkmcnt(13)
	v_mul_f64 v[41:42], v[30:31], v[47:48]
	v_fma_f64 v[43:44], v[28:29], v[45:46], -v[41:42]
	v_mul_f64 v[28:29], v[28:29], v[47:48]
	buffer_store_dword v45, off, s[44:47], 0 offset:464 ; 4-byte Folded Spill
	s_nop 0
	buffer_store_dword v46, off, s[44:47], 0 offset:468 ; 4-byte Folded Spill
	buffer_store_dword v47, off, s[44:47], 0 offset:472 ; 4-byte Folded Spill
	;; [unrolled: 1-line block ×3, first 2 shown]
	v_fma_f64 v[28:29], v[30:31], v[45:46], v[28:29]
	s_waitcnt lgkmcnt(12)
	v_mul_f64 v[30:31], v[34:35], v[89:90]
	v_fma_f64 v[48:49], v[32:33], v[87:88], -v[30:31]
	v_mul_f64 v[30:31], v[32:33], v[89:90]
	buffer_store_dword v87, off, s[44:47], 0 offset:448 ; 4-byte Folded Spill
	s_nop 0
	buffer_store_dword v88, off, s[44:47], 0 offset:452 ; 4-byte Folded Spill
	buffer_store_dword v89, off, s[44:47], 0 offset:456 ; 4-byte Folded Spill
	buffer_store_dword v90, off, s[44:47], 0 offset:460 ; 4-byte Folded Spill
	s_waitcnt lgkmcnt(11)
	v_mul_f64 v[32:33], v[38:39], v[85:86]
	v_fma_f64 v[50:51], v[36:37], v[83:84], -v[32:33]
	v_mul_f64 v[32:33], v[36:37], v[85:86]
	buffer_store_dword v83, off, s[44:47], 0 offset:432 ; 4-byte Folded Spill
	s_nop 0
	buffer_store_dword v84, off, s[44:47], 0 offset:436 ; 4-byte Folded Spill
	buffer_store_dword v85, off, s[44:47], 0 offset:440 ; 4-byte Folded Spill
	;; [unrolled: 1-line block ×3, first 2 shown]
	v_fma_f64 v[30:31], v[34:35], v[87:88], v[30:31]
	s_waitcnt lgkmcnt(10)
	v_mul_f64 v[34:35], v[55:56], v[81:82]
	v_fma_f64 v[45:46], v[53:54], v[79:80], -v[34:35]
	v_mul_f64 v[34:35], v[53:54], v[81:82]
	buffer_store_dword v79, off, s[44:47], 0 offset:416 ; 4-byte Folded Spill
	s_nop 0
	buffer_store_dword v80, off, s[44:47], 0 offset:420 ; 4-byte Folded Spill
	buffer_store_dword v81, off, s[44:47], 0 offset:424 ; 4-byte Folded Spill
	;; [unrolled: 1-line block ×3, first 2 shown]
	v_fma_f64 v[32:33], v[38:39], v[83:84], v[32:33]
	v_fma_f64 v[36:37], v[55:56], v[79:80], v[34:35]
	v_mul_lo_u16_sdwa v34, v214, s2 dst_sel:DWORD dst_unused:UNUSED_PAD src0_sel:BYTE_0 src1_sel:DWORD
	v_lshrrev_b16_e32 v47, 14, v34
	v_mul_lo_u16_e32 v34, 0x42, v47
	v_sub_u16_e32 v34, v214, v34
	v_and_b32_e32 v53, 0xff, v34
	v_lshlrev_b32_e32 v34, 6, v53
	global_load_dwordx4 v[54:57], v34, s[12:13] offset:928
	global_load_dwordx4 v[79:82], v34, s[12:13] offset:912
	;; [unrolled: 1-line block ×4, first 2 shown]
	s_mov_b32 s2, 0xf83f
	s_movk_i32 s13, 0x1000
	s_waitcnt vmcnt(1) lgkmcnt(7)
	v_mul_f64 v[41:42], v[67:68], v[85:86]
	s_waitcnt vmcnt(0)
	v_mul_f64 v[34:35], v[61:62], v[89:90]
	v_mul_f64 v[38:39], v[59:60], v[89:90]
	v_fma_f64 v[34:35], v[59:60], v[87:88], -v[34:35]
	buffer_store_dword v87, off, s[44:47], 0 offset:544 ; 4-byte Folded Spill
	s_nop 0
	buffer_store_dword v88, off, s[44:47], 0 offset:548 ; 4-byte Folded Spill
	buffer_store_dword v89, off, s[44:47], 0 offset:552 ; 4-byte Folded Spill
	;; [unrolled: 1-line block ×3, first 2 shown]
	v_fma_f64 v[194:195], v[61:62], v[87:88], v[38:39]
	v_mul_f64 v[38:39], v[69:70], v[85:86]
	v_fma_f64 v[38:39], v[67:68], v[83:84], -v[38:39]
	buffer_store_dword v83, off, s[44:47], 0 offset:512 ; 4-byte Folded Spill
	s_nop 0
	buffer_store_dword v84, off, s[44:47], 0 offset:516 ; 4-byte Folded Spill
	buffer_store_dword v85, off, s[44:47], 0 offset:520 ; 4-byte Folded Spill
	;; [unrolled: 1-line block ×3, first 2 shown]
	v_fma_f64 v[196:197], v[69:70], v[83:84], v[41:42]
	s_waitcnt lgkmcnt(6)
	v_mul_f64 v[41:42], v[73:74], v[81:82]
	v_fma_f64 v[208:209], v[71:72], v[79:80], -v[41:42]
	v_mul_f64 v[41:42], v[71:72], v[81:82]
	buffer_store_dword v79, off, s[44:47], 0 offset:496 ; 4-byte Folded Spill
	s_nop 0
	buffer_store_dword v80, off, s[44:47], 0 offset:500 ; 4-byte Folded Spill
	buffer_store_dword v81, off, s[44:47], 0 offset:504 ; 4-byte Folded Spill
	;; [unrolled: 1-line block ×3, first 2 shown]
	v_fma_f64 v[198:199], v[73:74], v[79:80], v[41:42]
	s_waitcnt lgkmcnt(5)
	v_mul_f64 v[41:42], v[77:78], v[56:57]
	v_fma_f64 v[212:213], v[75:76], v[54:55], -v[41:42]
	v_mul_f64 v[41:42], v[75:76], v[56:57]
	buffer_store_dword v54, off, s[44:47], 0 offset:480 ; 4-byte Folded Spill
	s_nop 0
	buffer_store_dword v55, off, s[44:47], 0 offset:484 ; 4-byte Folded Spill
	buffer_store_dword v56, off, s[44:47], 0 offset:488 ; 4-byte Folded Spill
	;; [unrolled: 1-line block ×3, first 2 shown]
	v_fma_f64 v[200:201], v[77:78], v[54:55], v[41:42]
	v_mul_u32_u24_sdwa v41, v224, s2 dst_sel:DWORD dst_unused:UNUSED_PAD src0_sel:WORD_0 src1_sel:DWORD
	v_lshrrev_b32_e32 v54, 22, v41
	v_mul_lo_u16_e32 v41, 0x42, v54
	v_sub_u16_e32 v55, v224, v41
	v_lshlrev_b16_e32 v41, 6, v55
	v_add_co_u32_e64 v41, s[2:3], s12, v41
	v_addc_co_u32_e64 v42, s[2:3], 0, v52, s[2:3]
	global_load_dwordx4 v[59:62], v[41:42], off offset:928
	global_load_dwordx4 v[69:72], v[41:42], off offset:912
	;; [unrolled: 1-line block ×4, first 2 shown]
	v_add_f64 v[56:57], v[200:201], -v[198:199]
	s_movk_i32 s2, 0x41
	v_cmp_lt_u16_e64 s[2:3], s2, v215
	s_waitcnt vmcnt(0) lgkmcnt(3)
	v_mul_f64 v[41:42], v[26:27], v[79:80]
	v_fma_f64 v[202:203], v[24:25], v[77:78], -v[41:42]
	v_mul_f64 v[24:25], v[24:25], v[79:80]
	buffer_store_dword v77, off, s[44:47], 0 offset:592 ; 4-byte Folded Spill
	s_nop 0
	buffer_store_dword v78, off, s[44:47], 0 offset:596 ; 4-byte Folded Spill
	buffer_store_dword v79, off, s[44:47], 0 offset:600 ; 4-byte Folded Spill
	;; [unrolled: 1-line block ×3, first 2 shown]
	v_fma_f64 v[41:42], v[26:27], v[77:78], v[24:25]
	s_waitcnt lgkmcnt(2)
	v_mul_f64 v[24:25], v[22:23], v[75:76]
	v_add_f64 v[26:27], v[50:51], -v[45:46]
	v_fma_f64 v[204:205], v[20:21], v[73:74], -v[24:25]
	v_mul_f64 v[20:21], v[20:21], v[75:76]
	buffer_store_dword v73, off, s[44:47], 0 offset:576 ; 4-byte Folded Spill
	s_nop 0
	buffer_store_dword v74, off, s[44:47], 0 offset:580 ; 4-byte Folded Spill
	buffer_store_dword v75, off, s[44:47], 0 offset:584 ; 4-byte Folded Spill
	;; [unrolled: 1-line block ×3, first 2 shown]
	v_add_f64 v[24:25], v[45:46], -v[50:51]
	v_fma_f64 v[67:68], v[22:23], v[73:74], v[20:21]
	s_waitcnt lgkmcnt(1)
	v_mul_f64 v[20:21], v[18:19], v[71:72]
	v_add_f64 v[22:23], v[30:31], -v[32:33]
	v_fma_f64 v[206:207], v[16:17], v[69:70], -v[20:21]
	v_mul_f64 v[16:17], v[16:17], v[71:72]
	buffer_store_dword v69, off, s[44:47], 0 offset:560 ; 4-byte Folded Spill
	s_nop 0
	buffer_store_dword v70, off, s[44:47], 0 offset:564 ; 4-byte Folded Spill
	buffer_store_dword v71, off, s[44:47], 0 offset:568 ; 4-byte Folded Spill
	;; [unrolled: 1-line block ×3, first 2 shown]
	v_add_f64 v[20:21], v[43:44], -v[48:49]
	v_add_f64 v[71:72], v[202:203], -v[204:205]
	v_add_f64 v[79:80], v[204:205], -v[206:207]
	v_add_f64 v[24:25], v[20:21], v[24:25]
	v_fma_f64 v[69:70], v[18:19], v[69:70], v[16:17]
	s_waitcnt lgkmcnt(0)
	v_mul_f64 v[16:17], v[14:15], v[61:62]
	v_add_f64 v[18:19], v[28:29], -v[36:37]
	v_fma_f64 v[210:211], v[12:13], v[59:60], -v[16:17]
	v_mul_f64 v[12:13], v[12:13], v[61:62]
	buffer_store_dword v59, off, s[44:47], 0 offset:528 ; 4-byte Folded Spill
	s_nop 0
	buffer_store_dword v60, off, s[44:47], 0 offset:532 ; 4-byte Folded Spill
	buffer_store_dword v61, off, s[44:47], 0 offset:536 ; 4-byte Folded Spill
	buffer_store_dword v62, off, s[44:47], 0 offset:540 ; 4-byte Folded Spill
	v_add_f64 v[61:62], v[67:68], -v[69:70]
	s_waitcnt vmcnt(0)
	s_barrier
	v_add_f64 v[73:74], v[210:211], -v[206:207]
	v_add_f64 v[75:76], v[206:207], -v[210:211]
	;; [unrolled: 1-line block ×3, first 2 shown]
	v_add_f64 v[71:72], v[71:72], v[73:74]
	v_add_f64 v[73:74], v[204:205], -v[202:203]
	v_add_f64 v[73:74], v[73:74], v[75:76]
	v_fma_f64 v[192:193], v[14:15], v[59:60], v[12:13]
	v_add_f64 v[14:15], v[48:49], v[50:51]
	v_add_f64 v[12:13], v[8:9], v[43:44]
	v_add_f64 v[59:60], v[198:199], -v[200:201]
	v_add_f64 v[81:82], v[192:193], -v[69:70]
	v_fma_f64 v[14:15], v[14:15], -0.5, v[8:9]
	v_add_f64 v[12:13], v[12:13], v[48:49]
	v_fma_f64 v[16:17], v[18:19], s[16:17], v[14:15]
	v_fma_f64 v[14:15], v[18:19], s[18:19], v[14:15]
	v_add_f64 v[12:13], v[12:13], v[50:51]
	v_fma_f64 v[16:17], v[22:23], s[14:15], v[16:17]
	v_fma_f64 v[14:15], v[22:23], s[20:21], v[14:15]
	;; [unrolled: 3-line block ×3, first 2 shown]
	v_add_f64 v[14:15], v[43:44], v[45:46]
	v_add_f64 v[24:25], v[48:49], -v[43:44]
	v_add_f64 v[43:44], v[43:44], -v[45:46]
	;; [unrolled: 1-line block ×5, first 2 shown]
	v_fma_f64 v[8:9], v[14:15], -0.5, v[8:9]
	v_add_f64 v[26:27], v[24:25], v[26:27]
	v_fma_f64 v[14:15], v[22:23], s[18:19], v[8:9]
	v_fma_f64 v[8:9], v[22:23], s[16:17], v[8:9]
	;; [unrolled: 1-line block ×4, first 2 shown]
	v_add_f64 v[18:19], v[30:31], v[32:33]
	v_fma_f64 v[24:25], v[26:27], s[4:5], v[14:15]
	v_fma_f64 v[8:9], v[26:27], s[4:5], v[8:9]
	v_fma_f64 v[18:19], v[18:19], -0.5, v[10:11]
	v_add_f64 v[26:27], v[28:29], -v[30:31]
	v_add_f64 v[14:15], v[10:11], v[28:29]
	v_fma_f64 v[22:23], v[43:44], s[18:19], v[18:19]
	v_fma_f64 v[18:19], v[43:44], s[16:17], v[18:19]
	v_add_f64 v[26:27], v[26:27], v[48:49]
	v_add_f64 v[14:15], v[14:15], v[30:31]
	v_add_f64 v[48:49], v[212:213], -v[208:209]
	v_fma_f64 v[22:23], v[45:46], s[20:21], v[22:23]
	v_fma_f64 v[18:19], v[45:46], s[14:15], v[18:19]
	v_add_f64 v[14:15], v[14:15], v[32:33]
	v_fma_f64 v[22:23], v[26:27], s[4:5], v[22:23]
	v_fma_f64 v[18:19], v[26:27], s[4:5], v[18:19]
	v_add_f64 v[26:27], v[28:29], v[36:37]
	v_add_f64 v[28:29], v[30:31], -v[28:29]
	v_add_f64 v[30:31], v[32:33], -v[36:37]
	v_add_f64 v[14:15], v[14:15], v[36:37]
	v_add_f64 v[36:37], v[34:35], -v[38:39]
	v_fma_f64 v[10:11], v[26:27], -0.5, v[10:11]
	v_add_f64 v[28:29], v[28:29], v[30:31]
	v_add_f64 v[30:31], v[38:39], v[208:209]
	;; [unrolled: 1-line block ×3, first 2 shown]
	v_fma_f64 v[26:27], v[45:46], s[16:17], v[10:11]
	v_fma_f64 v[10:11], v[45:46], s[18:19], v[10:11]
	v_add_f64 v[45:46], v[196:197], -v[198:199]
	v_fma_f64 v[30:31], v[30:31], -0.5, v[4:5]
	v_fma_f64 v[26:27], v[43:44], s[20:21], v[26:27]
	v_fma_f64 v[10:11], v[43:44], s[14:15], v[10:11]
	v_add_f64 v[43:44], v[194:195], -v[200:201]
	v_fma_f64 v[26:27], v[28:29], s[4:5], v[26:27]
	v_fma_f64 v[10:11], v[28:29], s[4:5], v[10:11]
	;; [unrolled: 1-line block ×4, first 2 shown]
	v_add_f64 v[28:29], v[4:5], v[34:35]
	v_fma_f64 v[32:33], v[45:46], s[14:15], v[32:33]
	v_fma_f64 v[30:31], v[45:46], s[20:21], v[30:31]
	v_add_f64 v[28:29], v[28:29], v[38:39]
	v_fma_f64 v[36:37], v[48:49], s[4:5], v[32:33]
	v_fma_f64 v[32:33], v[48:49], s[4:5], v[30:31]
	v_add_f64 v[30:31], v[34:35], v[212:213]
	v_add_f64 v[48:49], v[38:39], -v[34:35]
	v_add_f64 v[28:29], v[28:29], v[208:209]
	v_fma_f64 v[30:31], v[30:31], -0.5, v[4:5]
	v_add_f64 v[48:49], v[48:49], v[50:51]
	v_add_f64 v[50:51], v[38:39], -v[208:209]
	v_add_f64 v[38:39], v[194:195], -v[196:197]
	v_add_f64 v[28:29], v[28:29], v[212:213]
	v_fma_f64 v[4:5], v[45:46], s[18:19], v[30:31]
	v_fma_f64 v[30:31], v[45:46], s[16:17], v[30:31]
	v_add_f64 v[45:46], v[196:197], v[198:199]
	v_add_f64 v[56:57], v[38:39], v[56:57]
	v_fma_f64 v[4:5], v[43:44], s[14:15], v[4:5]
	v_fma_f64 v[30:31], v[43:44], s[20:21], v[30:31]
	v_fma_f64 v[45:46], v[45:46], -0.5, v[6:7]
	v_fma_f64 v[4:5], v[48:49], s[4:5], v[4:5]
	v_fma_f64 v[43:44], v[48:49], s[4:5], v[30:31]
	v_add_f64 v[48:49], v[34:35], -v[212:213]
	v_add_f64 v[30:31], v[6:7], v[194:195]
	v_fma_f64 v[34:35], v[48:49], s[18:19], v[45:46]
	v_add_f64 v[30:31], v[30:31], v[196:197]
	v_fma_f64 v[34:35], v[50:51], s[20:21], v[34:35]
	;; [unrolled: 2-line block ×3, first 2 shown]
	v_fma_f64 v[34:35], v[48:49], s[16:17], v[45:46]
	v_add_f64 v[45:46], v[194:195], v[200:201]
	v_add_f64 v[30:31], v[30:31], v[200:201]
	v_fma_f64 v[34:35], v[50:51], s[14:15], v[34:35]
	v_fma_f64 v[45:46], v[45:46], -0.5, v[6:7]
	v_fma_f64 v[34:35], v[56:57], s[4:5], v[34:35]
	v_fma_f64 v[6:7], v[50:51], s[16:17], v[45:46]
	v_add_f64 v[56:57], v[196:197], -v[194:195]
	v_fma_f64 v[45:46], v[50:51], s[18:19], v[45:46]
	v_add_f64 v[50:51], v[204:205], v[206:207]
	v_fma_f64 v[6:7], v[48:49], s[20:21], v[6:7]
	v_add_f64 v[56:57], v[56:57], v[59:60]
	v_fma_f64 v[45:46], v[48:49], s[14:15], v[45:46]
	v_fma_f64 v[50:51], v[50:51], -0.5, v[0:1]
	v_add_f64 v[48:49], v[0:1], v[202:203]
	v_fma_f64 v[6:7], v[56:57], s[4:5], v[6:7]
	v_fma_f64 v[45:46], v[56:57], s[4:5], v[45:46]
	v_add_f64 v[56:57], v[41:42], -v[192:193]
	v_add_f64 v[48:49], v[48:49], v[204:205]
	v_fma_f64 v[59:60], v[56:57], s[16:17], v[50:51]
	v_fma_f64 v[50:51], v[56:57], s[18:19], v[50:51]
	v_add_f64 v[48:49], v[48:49], v[206:207]
	v_fma_f64 v[59:60], v[61:62], s[14:15], v[59:60]
	v_fma_f64 v[50:51], v[61:62], s[20:21], v[50:51]
	;; [unrolled: 3-line block ×3, first 2 shown]
	v_add_f64 v[50:51], v[202:203], v[210:211]
	v_fma_f64 v[50:51], v[50:51], -0.5, v[0:1]
	v_fma_f64 v[0:1], v[61:62], s[18:19], v[50:51]
	v_fma_f64 v[50:51], v[61:62], s[16:17], v[50:51]
	;; [unrolled: 1-line block ×4, first 2 shown]
	v_add_f64 v[56:57], v[67:68], v[69:70]
	v_fma_f64 v[0:1], v[73:74], s[4:5], v[0:1]
	v_fma_f64 v[75:76], v[73:74], s[4:5], v[50:51]
	v_fma_f64 v[56:57], v[56:57], -0.5, v[2:3]
	v_add_f64 v[73:74], v[41:42], -v[67:68]
	v_add_f64 v[50:51], v[2:3], v[41:42]
	v_fma_f64 v[61:62], v[77:78], s[18:19], v[56:57]
	v_fma_f64 v[56:57], v[77:78], s[16:17], v[56:57]
	v_add_f64 v[73:74], v[73:74], v[81:82]
	v_add_f64 v[50:51], v[50:51], v[67:68]
	v_fma_f64 v[61:62], v[79:80], s[20:21], v[61:62]
	v_fma_f64 v[56:57], v[79:80], s[14:15], v[56:57]
	v_add_f64 v[50:51], v[50:51], v[69:70]
	v_fma_f64 v[61:62], v[73:74], s[4:5], v[61:62]
	v_fma_f64 v[73:74], v[73:74], s[4:5], v[56:57]
	v_add_f64 v[56:57], v[41:42], v[192:193]
	v_add_f64 v[41:42], v[67:68], -v[41:42]
	v_add_f64 v[67:68], v[69:70], -v[192:193]
	v_add_f64 v[50:51], v[50:51], v[192:193]
	v_fma_f64 v[56:57], v[56:57], -0.5, v[2:3]
	v_add_f64 v[41:42], v[41:42], v[67:68]
	v_fma_f64 v[2:3], v[79:80], s[16:17], v[56:57]
	v_fma_f64 v[56:57], v[79:80], s[18:19], v[56:57]
	;; [unrolled: 1-line block ×6, first 2 shown]
	v_mov_b32_e32 v41, 0x14a
	v_cndmask_b32_e64 v41, 0, v41, s[2:3]
	v_add_lshl_u32 v192, v40, v41, 4
	ds_write_b128 v192, v[12:15]
	ds_write_b128 v192, v[20:23] offset:1056
	ds_write_b128 v192, v[24:27] offset:2112
	;; [unrolled: 1-line block ×4, first 2 shown]
	v_mul_u32_u24_e32 v8, 0x14a, v47
	v_add_lshl_u32 v193, v8, v53, 4
	v_lshlrev_b32_e32 v8, 6, v215
	v_add_co_u32_e64 v42, s[2:3], s12, v8
	ds_write_b128 v193, v[28:31]
	ds_write_b128 v193, v[36:39] offset:1056
	ds_write_b128 v193, v[4:7] offset:2112
	;; [unrolled: 1-line block ×4, first 2 shown]
	v_mad_legacy_u16 v4, v54, s22, v55
	v_addc_co_u32_e64 v43, s[2:3], 0, v52, s[2:3]
	s_movk_i32 s22, 0x13f0
	v_add_co_u32_e64 v8, s[2:3], s22, v42
	v_addc_co_u32_e64 v9, s[2:3], 0, v43, s[2:3]
	v_lshlrev_b32_e32 v194, 4, v4
	v_add_co_u32_e64 v42, s[2:3], s13, v42
	ds_write_b128 v194, v[48:51]
	ds_write_b128 v194, v[59:62] offset:1056
	ds_write_b128 v194, v[0:3] offset:2112
	ds_write_b128 v194, v[75:78] offset:3168
	ds_write_b128 v194, v[71:74] offset:4224
	s_waitcnt lgkmcnt(0)
	s_barrier
	ds_read_b128 v[10:13], v66
	ds_read_b128 v[30:33], v66 offset:5280
	ds_read_b128 v[34:37], v66 offset:10560
	;; [unrolled: 1-line block ×14, first 2 shown]
	buffer_store_dword v215, off, s[44:47], 0 offset:8 ; 4-byte Folded Spill
	v_addc_co_u32_e64 v43, s[2:3], 0, v43, s[2:3]
	global_load_dwordx4 v[208:211], v[42:43], off offset:1008
	global_load_dwordx4 v[195:198], v[8:9], off offset:48
	;; [unrolled: 1-line block ×4, first 2 shown]
	s_waitcnt vmcnt(3) lgkmcnt(13)
	v_mul_f64 v[8:9], v[32:33], v[210:211]
	v_fma_f64 v[44:45], v[30:31], v[208:209], -v[8:9]
	v_mul_f64 v[8:9], v[30:31], v[210:211]
	v_fma_f64 v[30:31], v[32:33], v[208:209], v[8:9]
	s_waitcnt vmcnt(0) lgkmcnt(12)
	v_mul_f64 v[8:9], v[36:37], v[217:218]
	v_fma_f64 v[46:47], v[34:35], v[215:216], -v[8:9]
	v_mul_f64 v[8:9], v[34:35], v[217:218]
	v_fma_f64 v[32:33], v[36:37], v[215:216], v[8:9]
	s_waitcnt lgkmcnt(11)
	v_mul_f64 v[8:9], v[40:41], v[201:202]
	v_fma_f64 v[56:57], v[38:39], v[199:200], -v[8:9]
	v_mul_f64 v[8:9], v[38:39], v[201:202]
	v_fma_f64 v[34:35], v[40:41], v[199:200], v[8:9]
	s_waitcnt lgkmcnt(10)
	v_mul_f64 v[8:9], v[50:51], v[197:198]
	v_fma_f64 v[79:80], v[48:49], v[195:196], -v[8:9]
	v_mul_f64 v[8:9], v[48:49], v[197:198]
	v_fma_f64 v[38:39], v[50:51], v[195:196], v[8:9]
	v_lshlrev_b32_e32 v8, 6, v214
	v_add_co_u32_e64 v36, s[2:3], s12, v8
	v_addc_co_u32_e64 v37, s[2:3], 0, v52, s[2:3]
	v_add_co_u32_e64 v8, s[2:3], s22, v36
	v_addc_co_u32_e64 v9, s[2:3], 0, v37, s[2:3]
	;; [unrolled: 2-line block ×3, first 2 shown]
	global_load_dwordx4 v[40:43], v[36:37], off offset:1008
	global_load_dwordx4 v[219:222], v[8:9], off offset:48
	;; [unrolled: 1-line block ×4, first 2 shown]
	s_waitcnt vmcnt(3) lgkmcnt(8)
	v_mul_f64 v[8:9], v[61:62], v[42:43]
	v_fma_f64 v[36:37], v[59:60], v[40:41], -v[8:9]
	v_mul_f64 v[8:9], v[59:60], v[42:43]
	buffer_store_dword v40, off, s[44:47], 0 offset:624 ; 4-byte Folded Spill
	s_nop 0
	buffer_store_dword v41, off, s[44:47], 0 offset:628 ; 4-byte Folded Spill
	buffer_store_dword v42, off, s[44:47], 0 offset:632 ; 4-byte Folded Spill
	;; [unrolled: 1-line block ×3, first 2 shown]
	v_fma_f64 v[240:241], v[61:62], v[40:41], v[8:9]
	s_waitcnt vmcnt(4) lgkmcnt(7)
	v_mul_f64 v[8:9], v[69:70], v[83:84]
	v_fma_f64 v[40:41], v[67:68], v[81:82], -v[8:9]
	v_mul_f64 v[8:9], v[67:68], v[83:84]
	buffer_store_dword v81, off, s[44:47], 0 offset:640 ; 4-byte Folded Spill
	s_nop 0
	buffer_store_dword v82, off, s[44:47], 0 offset:644 ; 4-byte Folded Spill
	buffer_store_dword v83, off, s[44:47], 0 offset:648 ; 4-byte Folded Spill
	buffer_store_dword v84, off, s[44:47], 0 offset:652 ; 4-byte Folded Spill
	v_fma_f64 v[242:243], v[69:70], v[81:82], v[8:9]
	s_waitcnt lgkmcnt(6)
	v_mul_f64 v[8:9], v[73:74], v[50:51]
	v_fma_f64 v[54:55], v[71:72], v[48:49], -v[8:9]
	v_mul_f64 v[8:9], v[71:72], v[50:51]
	buffer_store_dword v48, off, s[44:47], 0 offset:608 ; 4-byte Folded Spill
	s_nop 0
	buffer_store_dword v49, off, s[44:47], 0 offset:612 ; 4-byte Folded Spill
	buffer_store_dword v50, off, s[44:47], 0 offset:616 ; 4-byte Folded Spill
	;; [unrolled: 1-line block ×3, first 2 shown]
	v_fma_f64 v[244:245], v[73:74], v[48:49], v[8:9]
	s_waitcnt lgkmcnt(5)
	v_mul_f64 v[8:9], v[77:78], v[221:222]
	v_fma_f64 v[248:249], v[75:76], v[219:220], -v[8:9]
	v_mul_f64 v[8:9], v[75:76], v[221:222]
	v_fma_f64 v[246:247], v[77:78], v[219:220], v[8:9]
	v_lshlrev_b64 v[8:9], 6, v[224:225]
	v_add_co_u32_e64 v42, s[2:3], s12, v8
	v_addc_co_u32_e64 v43, s[2:3], v52, v9, s[2:3]
	v_add_co_u32_e64 v8, s[2:3], s22, v42
	v_addc_co_u32_e64 v9, s[2:3], 0, v43, s[2:3]
	;; [unrolled: 2-line block ×3, first 2 shown]
	global_load_dwordx4 v[235:238], v[42:43], off offset:1008
	global_load_dwordx4 v[223:226], v[8:9], off offset:48
	;; [unrolled: 1-line block ×4, first 2 shown]
	v_add_f64 v[59:60], v[244:245], -v[246:247]
	s_movk_i32 s2, 0x6720
	s_movk_i32 s12, 0x6000
	s_waitcnt vmcnt(3) lgkmcnt(3)
	v_mul_f64 v[8:9], v[28:29], v[237:238]
	v_fma_f64 v[254:255], v[26:27], v[235:236], -v[8:9]
	v_mul_f64 v[8:9], v[26:27], v[237:238]
	v_add_f64 v[26:27], v[56:57], -v[79:80]
	v_fma_f64 v[42:43], v[28:29], v[235:236], v[8:9]
	s_waitcnt vmcnt(0) lgkmcnt(2)
	v_mul_f64 v[8:9], v[24:25], v[233:234]
	v_add_f64 v[28:29], v[30:31], -v[32:33]
	v_fma_f64 v[48:49], v[22:23], v[231:232], -v[8:9]
	v_mul_f64 v[8:9], v[22:23], v[233:234]
	v_add_f64 v[22:23], v[44:45], -v[46:47]
	v_add_f64 v[71:72], v[254:255], -v[48:49]
	v_fma_f64 v[67:68], v[24:25], v[231:232], v[8:9]
	s_waitcnt lgkmcnt(1)
	v_mul_f64 v[8:9], v[20:21], v[229:230]
	v_add_f64 v[24:25], v[79:80], -v[56:57]
	v_fma_f64 v[50:51], v[18:19], v[227:228], -v[8:9]
	v_mul_f64 v[8:9], v[18:19], v[229:230]
	v_add_f64 v[22:23], v[22:23], v[24:25]
	v_add_f64 v[24:25], v[46:47], -v[44:45]
	v_fma_f64 v[69:70], v[20:21], v[227:228], v[8:9]
	s_waitcnt lgkmcnt(0)
	v_mul_f64 v[8:9], v[16:17], v[225:226]
	v_add_f64 v[20:21], v[32:33], -v[34:35]
	v_add_f64 v[24:25], v[24:25], v[26:27]
	v_add_f64 v[61:62], v[67:68], -v[69:70]
	v_fma_f64 v[52:53], v[14:15], v[223:224], -v[8:9]
	v_mul_f64 v[8:9], v[14:15], v[225:226]
	v_add_f64 v[14:15], v[46:47], v[56:57]
	v_add_f64 v[73:74], v[52:53], -v[50:51]
	v_fma_f64 v[250:251], v[16:17], v[223:224], v[8:9]
	v_fma_f64 v[14:15], v[14:15], -0.5, v[10:11]
	v_add_f64 v[16:17], v[30:31], -v[38:39]
	v_add_f64 v[8:9], v[10:11], v[44:45]
	v_add_f64 v[71:72], v[71:72], v[73:74]
	v_fma_f64 v[18:19], v[16:17], s[16:17], v[14:15]
	v_fma_f64 v[14:15], v[16:17], s[18:19], v[14:15]
	v_add_f64 v[8:9], v[8:9], v[46:47]
	v_fma_f64 v[18:19], v[20:21], s[14:15], v[18:19]
	v_fma_f64 v[14:15], v[20:21], s[20:21], v[14:15]
	v_add_f64 v[8:9], v[8:9], v[56:57]
	v_fma_f64 v[18:19], v[22:23], s[4:5], v[18:19]
	v_fma_f64 v[14:15], v[22:23], s[4:5], v[14:15]
	v_add_f64 v[22:23], v[44:45], v[79:80]
	v_add_f64 v[8:9], v[8:9], v[79:80]
	v_fma_f64 v[10:11], v[22:23], -0.5, v[10:11]
	v_fma_f64 v[22:23], v[20:21], s[18:19], v[10:11]
	v_fma_f64 v[10:11], v[20:21], s[16:17], v[10:11]
	;; [unrolled: 1-line block ×4, first 2 shown]
	v_add_f64 v[16:17], v[32:33], v[34:35]
	v_fma_f64 v[26:27], v[24:25], s[4:5], v[22:23]
	v_fma_f64 v[22:23], v[24:25], s[4:5], v[10:11]
	v_fma_f64 v[16:17], v[16:17], -0.5, v[12:13]
	v_add_f64 v[24:25], v[44:45], -v[79:80]
	v_add_f64 v[44:45], v[46:47], -v[56:57]
	;; [unrolled: 1-line block ×3, first 2 shown]
	v_add_f64 v[10:11], v[12:13], v[30:31]
	v_add_f64 v[56:57], v[54:55], -v[248:249]
	v_fma_f64 v[20:21], v[24:25], s[18:19], v[16:17]
	v_fma_f64 v[16:17], v[24:25], s[16:17], v[16:17]
	v_add_f64 v[28:29], v[28:29], v[46:47]
	v_add_f64 v[10:11], v[10:11], v[32:33]
	v_add_f64 v[46:47], v[248:249], -v[54:55]
	v_fma_f64 v[20:21], v[44:45], s[20:21], v[20:21]
	v_fma_f64 v[16:17], v[44:45], s[14:15], v[16:17]
	v_add_f64 v[10:11], v[10:11], v[34:35]
	v_fma_f64 v[20:21], v[28:29], s[4:5], v[20:21]
	v_fma_f64 v[16:17], v[28:29], s[4:5], v[16:17]
	v_add_f64 v[28:29], v[30:31], v[38:39]
	v_add_f64 v[30:31], v[32:33], -v[30:31]
	v_add_f64 v[32:33], v[34:35], -v[38:39]
	v_add_f64 v[10:11], v[10:11], v[38:39]
	v_add_f64 v[38:39], v[36:37], -v[40:41]
	v_fma_f64 v[12:13], v[28:29], -0.5, v[12:13]
	v_add_f64 v[30:31], v[30:31], v[32:33]
	v_add_f64 v[32:33], v[240:241], -v[246:247]
	v_add_f64 v[46:47], v[38:39], v[46:47]
	v_fma_f64 v[28:29], v[44:45], s[16:17], v[12:13]
	v_fma_f64 v[12:13], v[44:45], s[18:19], v[12:13]
	v_add_f64 v[44:45], v[242:243], -v[244:245]
	v_fma_f64 v[28:29], v[24:25], s[20:21], v[28:29]
	v_fma_f64 v[12:13], v[24:25], s[14:15], v[12:13]
	;; [unrolled: 1-line block ×4, first 2 shown]
	v_add_f64 v[12:13], v[4:5], v[36:37]
	v_add_f64 v[12:13], v[12:13], v[40:41]
	;; [unrolled: 1-line block ×5, first 2 shown]
	v_add_f64 v[54:55], v[40:41], -v[54:55]
	v_fma_f64 v[12:13], v[12:13], -0.5, v[4:5]
	v_fma_f64 v[34:35], v[32:33], s[16:17], v[12:13]
	v_fma_f64 v[12:13], v[32:33], s[18:19], v[12:13]
	;; [unrolled: 1-line block ×6, first 2 shown]
	v_add_f64 v[12:13], v[36:37], v[248:249]
	v_add_f64 v[46:47], v[40:41], -v[36:37]
	v_add_f64 v[40:41], v[240:241], -v[242:243]
	v_fma_f64 v[12:13], v[12:13], -0.5, v[4:5]
	v_add_f64 v[46:47], v[46:47], v[56:57]
	v_add_f64 v[56:57], v[246:247], -v[244:245]
	v_fma_f64 v[4:5], v[44:45], s[18:19], v[12:13]
	v_fma_f64 v[12:13], v[44:45], s[16:17], v[12:13]
	v_add_f64 v[56:57], v[40:41], v[56:57]
	v_fma_f64 v[4:5], v[32:33], s[14:15], v[4:5]
	v_fma_f64 v[12:13], v[32:33], s[20:21], v[12:13]
	;; [unrolled: 1-line block ×4, first 2 shown]
	v_add_f64 v[12:13], v[6:7], v[240:241]
	v_add_f64 v[46:47], v[36:37], -v[248:249]
	v_add_f64 v[12:13], v[12:13], v[242:243]
	v_add_f64 v[12:13], v[12:13], v[244:245]
	;; [unrolled: 1-line block ×4, first 2 shown]
	v_fma_f64 v[12:13], v[12:13], -0.5, v[6:7]
	v_fma_f64 v[36:37], v[46:47], s[18:19], v[12:13]
	v_fma_f64 v[12:13], v[46:47], s[16:17], v[12:13]
	;; [unrolled: 1-line block ×6, first 2 shown]
	v_add_f64 v[12:13], v[240:241], v[246:247]
	v_add_f64 v[56:57], v[242:243], -v[240:241]
	v_fma_f64 v[12:13], v[12:13], -0.5, v[6:7]
	v_add_f64 v[56:57], v[56:57], v[59:60]
	v_fma_f64 v[6:7], v[54:55], s[16:17], v[12:13]
	v_fma_f64 v[12:13], v[54:55], s[18:19], v[12:13]
	;; [unrolled: 1-line block ×6, first 2 shown]
	v_add_f64 v[12:13], v[0:1], v[254:255]
	v_add_f64 v[56:57], v[42:43], -v[250:251]
	v_add_f64 v[12:13], v[12:13], v[48:49]
	v_add_f64 v[12:13], v[12:13], v[50:51]
	;; [unrolled: 1-line block ×4, first 2 shown]
	v_fma_f64 v[12:13], v[12:13], -0.5, v[0:1]
	v_fma_f64 v[59:60], v[56:57], s[16:17], v[12:13]
	v_fma_f64 v[12:13], v[56:57], s[18:19], v[12:13]
	v_fma_f64 v[59:60], v[61:62], s[14:15], v[59:60]
	v_fma_f64 v[12:13], v[61:62], s[20:21], v[12:13]
	v_fma_f64 v[240:241], v[71:72], s[4:5], v[59:60]
	v_fma_f64 v[244:245], v[71:72], s[4:5], v[12:13]
	v_add_f64 v[12:13], v[254:255], v[52:53]
	v_add_f64 v[59:60], v[48:49], -v[254:255]
	v_add_f64 v[71:72], v[50:51], -v[52:53]
	;; [unrolled: 1-line block ×3, first 2 shown]
	v_fma_f64 v[0:1], v[12:13], -0.5, v[0:1]
	v_add_f64 v[59:60], v[59:60], v[71:72]
	v_fma_f64 v[12:13], v[61:62], s[18:19], v[0:1]
	v_fma_f64 v[0:1], v[61:62], s[16:17], v[0:1]
	;; [unrolled: 1-line block ×6, first 2 shown]
	v_add_f64 v[0:1], v[2:3], v[42:43]
	v_add_f64 v[12:13], v[254:255], -v[52:53]
	v_add_f64 v[59:60], v[250:251], -v[69:70]
	v_add_f64 v[0:1], v[0:1], v[67:68]
	v_add_f64 v[0:1], v[0:1], v[69:70]
	;; [unrolled: 1-line block ×4, first 2 shown]
	v_fma_f64 v[0:1], v[0:1], -0.5, v[2:3]
	v_fma_f64 v[52:53], v[12:13], s[18:19], v[0:1]
	v_fma_f64 v[0:1], v[12:13], s[16:17], v[0:1]
	;; [unrolled: 1-line block ×3, first 2 shown]
	v_add_f64 v[52:53], v[42:43], -v[67:68]
	v_fma_f64 v[0:1], v[48:49], s[14:15], v[0:1]
	v_add_f64 v[52:53], v[52:53], v[59:60]
	v_fma_f64 v[246:247], v[52:53], s[4:5], v[0:1]
	v_add_f64 v[0:1], v[42:43], v[250:251]
	v_fma_f64 v[242:243], v[52:53], s[4:5], v[50:51]
	v_add_f64 v[42:43], v[67:68], -v[42:43]
	v_add_f64 v[50:51], v[69:70], -v[250:251]
	v_fma_f64 v[0:1], v[0:1], -0.5, v[2:3]
	v_add_f64 v[42:43], v[42:43], v[50:51]
	v_fma_f64 v[2:3], v[48:49], s[16:17], v[0:1]
	v_fma_f64 v[0:1], v[48:49], s[18:19], v[0:1]
	;; [unrolled: 1-line block ×6, first 2 shown]
	v_add_co_u32_e64 v0, s[2:3], s2, v64
	v_addc_co_u32_e64 v1, s[2:3], 0, v58, s[2:3]
	ds_write_b128 v66, v[8:11]
	ds_write_b128 v66, v[18:21] offset:5280
	ds_write_b128 v66, v[26:29] offset:10560
	;; [unrolled: 1-line block ×14, first 2 shown]
	v_add_co_u32_e64 v6, s[2:3], s12, v64
	v_addc_co_u32_e64 v7, s[2:3], 0, v58, s[2:3]
	s_waitcnt lgkmcnt(0)
	s_barrier
	global_load_dwordx4 v[6:9], v[6:7], off offset:1824
	ds_read_b128 v[2:5], v66
	s_movk_i32 s2, 0x7000
	s_waitcnt vmcnt(0) lgkmcnt(0)
	v_mul_f64 v[10:11], v[4:5], v[8:9]
	v_fma_f64 v[10:11], v[2:3], v[6:7], -v[10:11]
	v_mul_f64 v[2:3], v[2:3], v[8:9]
	v_fma_f64 v[12:13], v[4:5], v[6:7], v[2:3]
	global_load_dwordx4 v[6:9], v[0:1], off offset:2400
	ds_read_b128 v[2:5], v66 offset:2400
	ds_write_b128 v66, v[10:13]
	s_waitcnt vmcnt(0) lgkmcnt(1)
	v_mul_f64 v[10:11], v[4:5], v[8:9]
	v_fma_f64 v[10:11], v[2:3], v[6:7], -v[10:11]
	v_mul_f64 v[2:3], v[2:3], v[8:9]
	v_fma_f64 v[12:13], v[4:5], v[6:7], v[2:3]
	v_add_co_u32_e64 v6, s[2:3], s2, v64
	v_addc_co_u32_e64 v7, s[2:3], 0, v58, s[2:3]
	global_load_dwordx4 v[6:9], v[6:7], off offset:2528
	ds_read_b128 v[2:5], v66 offset:4800
	s_mov_b32 s2, 0x8000
	ds_write_b128 v66, v[10:13] offset:2400
	v_add_co_u32_e64 v14, s[2:3], s2, v64
	v_addc_co_u32_e64 v15, s[2:3], 0, v58, s[2:3]
	s_mov_b32 s2, 0x9000
	s_waitcnt vmcnt(0) lgkmcnt(1)
	v_mul_f64 v[10:11], v[4:5], v[8:9]
	v_fma_f64 v[10:11], v[2:3], v[6:7], -v[10:11]
	v_mul_f64 v[2:3], v[2:3], v[8:9]
	v_fma_f64 v[12:13], v[4:5], v[6:7], v[2:3]
	global_load_dwordx4 v[6:9], v[14:15], off offset:832
	ds_read_b128 v[2:5], v66 offset:7200
	ds_write_b128 v66, v[10:13] offset:4800
	s_waitcnt vmcnt(0) lgkmcnt(1)
	v_mul_f64 v[10:11], v[4:5], v[8:9]
	v_fma_f64 v[10:11], v[2:3], v[6:7], -v[10:11]
	v_mul_f64 v[2:3], v[2:3], v[8:9]
	v_fma_f64 v[12:13], v[4:5], v[6:7], v[2:3]
	global_load_dwordx4 v[6:9], v[14:15], off offset:3232
	ds_read_b128 v[2:5], v66 offset:9600
	v_add_co_u32_e64 v14, s[2:3], s2, v64
	v_addc_co_u32_e64 v15, s[2:3], 0, v58, s[2:3]
	s_mov_b32 s2, 0xa000
	ds_write_b128 v66, v[10:13] offset:7200
	s_waitcnt vmcnt(0) lgkmcnt(1)
	v_mul_f64 v[10:11], v[4:5], v[8:9]
	v_fma_f64 v[10:11], v[2:3], v[6:7], -v[10:11]
	v_mul_f64 v[2:3], v[2:3], v[8:9]
	v_fma_f64 v[12:13], v[4:5], v[6:7], v[2:3]
	global_load_dwordx4 v[6:9], v[14:15], off offset:1536
	ds_read_b128 v[2:5], v66 offset:12000
	ds_write_b128 v66, v[10:13] offset:9600
	s_waitcnt vmcnt(0) lgkmcnt(1)
	v_mul_f64 v[10:11], v[4:5], v[8:9]
	v_fma_f64 v[10:11], v[2:3], v[6:7], -v[10:11]
	v_mul_f64 v[2:3], v[2:3], v[8:9]
	v_fma_f64 v[12:13], v[4:5], v[6:7], v[2:3]
	global_load_dwordx4 v[6:9], v[14:15], off offset:3936
	ds_read_b128 v[2:5], v66 offset:14400
	ds_write_b128 v66, v[10:13] offset:12000
	s_waitcnt vmcnt(0) lgkmcnt(1)
	v_mul_f64 v[10:11], v[4:5], v[8:9]
	v_fma_f64 v[10:11], v[2:3], v[6:7], -v[10:11]
	v_mul_f64 v[2:3], v[2:3], v[8:9]
	v_fma_f64 v[12:13], v[4:5], v[6:7], v[2:3]
	v_add_co_u32_e64 v6, s[2:3], s2, v64
	v_addc_co_u32_e64 v7, s[2:3], 0, v58, s[2:3]
	global_load_dwordx4 v[6:9], v[6:7], off offset:2240
	ds_read_b128 v[2:5], v66 offset:16800
	s_mov_b32 s2, 0xb000
	ds_write_b128 v66, v[10:13] offset:14400
	v_add_co_u32_e64 v14, s[2:3], s2, v64
	v_addc_co_u32_e64 v15, s[2:3], 0, v58, s[2:3]
	s_mov_b32 s2, 0xc000
	s_waitcnt vmcnt(0) lgkmcnt(1)
	v_mul_f64 v[10:11], v[4:5], v[8:9]
	v_fma_f64 v[10:11], v[2:3], v[6:7], -v[10:11]
	v_mul_f64 v[2:3], v[2:3], v[8:9]
	v_fma_f64 v[12:13], v[4:5], v[6:7], v[2:3]
	global_load_dwordx4 v[6:9], v[14:15], off offset:544
	ds_read_b128 v[2:5], v66 offset:19200
	ds_write_b128 v66, v[10:13] offset:16800
	s_waitcnt vmcnt(0) lgkmcnt(1)
	v_mul_f64 v[10:11], v[4:5], v[8:9]
	v_fma_f64 v[10:11], v[2:3], v[6:7], -v[10:11]
	v_mul_f64 v[2:3], v[2:3], v[8:9]
	v_fma_f64 v[12:13], v[4:5], v[6:7], v[2:3]
	global_load_dwordx4 v[6:9], v[14:15], off offset:2944
	ds_read_b128 v[2:5], v66 offset:21600
	ds_write_b128 v66, v[10:13] offset:19200
	s_waitcnt vmcnt(0) lgkmcnt(1)
	v_mul_f64 v[10:11], v[4:5], v[8:9]
	v_fma_f64 v[10:11], v[2:3], v[6:7], -v[10:11]
	v_mul_f64 v[2:3], v[2:3], v[8:9]
	v_fma_f64 v[12:13], v[4:5], v[6:7], v[2:3]
	v_add_co_u32_e64 v6, s[2:3], s2, v64
	v_addc_co_u32_e64 v7, s[2:3], 0, v58, s[2:3]
	global_load_dwordx4 v[6:9], v[6:7], off offset:1248
	ds_read_b128 v[2:5], v66 offset:24000
	ds_write_b128 v66, v[10:13] offset:21600
	s_waitcnt vmcnt(0) lgkmcnt(1)
	v_mul_f64 v[10:11], v[4:5], v[8:9]
	v_fma_f64 v[10:11], v[2:3], v[6:7], -v[10:11]
	v_mul_f64 v[2:3], v[2:3], v[8:9]
	v_fma_f64 v[12:13], v[4:5], v[6:7], v[2:3]
	ds_write_b128 v66, v[10:13] offset:24000
	s_and_saveexec_b64 s[4:5], vcc
	s_cbranch_execz .LBB0_13
; %bb.12:
	global_load_dwordx4 v[6:9], v[0:1], off offset:1760
	ds_read_b128 v[2:5], v66 offset:1760
	v_add_co_u32_e64 v14, s[2:3], s13, v0
	v_addc_co_u32_e64 v15, s[2:3], 0, v1, s[2:3]
	s_movk_i32 s2, 0x2000
	s_waitcnt vmcnt(0) lgkmcnt(0)
	v_mul_f64 v[10:11], v[4:5], v[8:9]
	v_fma_f64 v[10:11], v[2:3], v[6:7], -v[10:11]
	v_mul_f64 v[2:3], v[2:3], v[8:9]
	v_fma_f64 v[12:13], v[4:5], v[6:7], v[2:3]
	global_load_dwordx4 v[6:9], v[14:15], off offset:64
	ds_read_b128 v[2:5], v66 offset:4160
	ds_write_b128 v66, v[10:13] offset:1760
	s_waitcnt vmcnt(0) lgkmcnt(1)
	v_mul_f64 v[10:11], v[4:5], v[8:9]
	v_fma_f64 v[10:11], v[2:3], v[6:7], -v[10:11]
	v_mul_f64 v[2:3], v[2:3], v[8:9]
	v_fma_f64 v[12:13], v[4:5], v[6:7], v[2:3]
	global_load_dwordx4 v[6:9], v[14:15], off offset:2464
	ds_read_b128 v[2:5], v66 offset:6560
	v_add_co_u32_e64 v14, s[2:3], s2, v0
	v_addc_co_u32_e64 v15, s[2:3], 0, v1, s[2:3]
	s_movk_i32 s2, 0x3000
	ds_write_b128 v66, v[10:13] offset:4160
	s_waitcnt vmcnt(0) lgkmcnt(1)
	v_mul_f64 v[10:11], v[4:5], v[8:9]
	v_fma_f64 v[10:11], v[2:3], v[6:7], -v[10:11]
	v_mul_f64 v[2:3], v[2:3], v[8:9]
	v_fma_f64 v[12:13], v[4:5], v[6:7], v[2:3]
	global_load_dwordx4 v[6:9], v[14:15], off offset:768
	ds_read_b128 v[2:5], v66 offset:8960
	ds_write_b128 v66, v[10:13] offset:6560
	s_waitcnt vmcnt(0) lgkmcnt(1)
	v_mul_f64 v[10:11], v[4:5], v[8:9]
	v_fma_f64 v[10:11], v[2:3], v[6:7], -v[10:11]
	v_mul_f64 v[2:3], v[2:3], v[8:9]
	v_fma_f64 v[12:13], v[4:5], v[6:7], v[2:3]
	global_load_dwordx4 v[6:9], v[14:15], off offset:3168
	ds_read_b128 v[2:5], v66 offset:11360
	v_add_co_u32_e64 v14, s[2:3], s2, v0
	v_addc_co_u32_e64 v15, s[2:3], 0, v1, s[2:3]
	s_movk_i32 s2, 0x4000
	ds_write_b128 v66, v[10:13] offset:8960
	s_waitcnt vmcnt(0) lgkmcnt(1)
	v_mul_f64 v[10:11], v[4:5], v[8:9]
	v_fma_f64 v[10:11], v[2:3], v[6:7], -v[10:11]
	v_mul_f64 v[2:3], v[2:3], v[8:9]
	v_fma_f64 v[12:13], v[4:5], v[6:7], v[2:3]
	global_load_dwordx4 v[6:9], v[14:15], off offset:1472
	ds_read_b128 v[2:5], v66 offset:13760
	ds_write_b128 v66, v[10:13] offset:11360
	s_waitcnt vmcnt(0) lgkmcnt(1)
	v_mul_f64 v[10:11], v[4:5], v[8:9]
	v_fma_f64 v[10:11], v[2:3], v[6:7], -v[10:11]
	v_mul_f64 v[2:3], v[2:3], v[8:9]
	v_fma_f64 v[12:13], v[4:5], v[6:7], v[2:3]
	global_load_dwordx4 v[6:9], v[14:15], off offset:3872
	ds_read_b128 v[2:5], v66 offset:16160
	ds_write_b128 v66, v[10:13] offset:13760
	s_waitcnt vmcnt(0) lgkmcnt(1)
	v_mul_f64 v[10:11], v[4:5], v[8:9]
	v_fma_f64 v[10:11], v[2:3], v[6:7], -v[10:11]
	v_mul_f64 v[2:3], v[2:3], v[8:9]
	v_fma_f64 v[12:13], v[4:5], v[6:7], v[2:3]
	v_add_co_u32_e64 v6, s[2:3], s2, v0
	v_addc_co_u32_e64 v7, s[2:3], 0, v1, s[2:3]
	global_load_dwordx4 v[6:9], v[6:7], off offset:2176
	ds_read_b128 v[2:5], v66 offset:18560
	s_movk_i32 s2, 0x5000
	ds_write_b128 v66, v[10:13] offset:16160
	v_add_co_u32_e64 v14, s[2:3], s2, v0
	v_addc_co_u32_e64 v15, s[2:3], 0, v1, s[2:3]
	v_add_co_u32_e64 v0, s[2:3], s12, v0
	v_addc_co_u32_e64 v1, s[2:3], 0, v1, s[2:3]
	s_waitcnt vmcnt(0) lgkmcnt(1)
	v_mul_f64 v[10:11], v[4:5], v[8:9]
	v_fma_f64 v[10:11], v[2:3], v[6:7], -v[10:11]
	v_mul_f64 v[2:3], v[2:3], v[8:9]
	v_fma_f64 v[12:13], v[4:5], v[6:7], v[2:3]
	global_load_dwordx4 v[6:9], v[14:15], off offset:480
	ds_read_b128 v[2:5], v66 offset:20960
	ds_write_b128 v66, v[10:13] offset:18560
	s_waitcnt vmcnt(0) lgkmcnt(1)
	v_mul_f64 v[10:11], v[4:5], v[8:9]
	v_fma_f64 v[10:11], v[2:3], v[6:7], -v[10:11]
	v_mul_f64 v[2:3], v[2:3], v[8:9]
	v_fma_f64 v[12:13], v[4:5], v[6:7], v[2:3]
	global_load_dwordx4 v[6:9], v[14:15], off offset:2880
	ds_read_b128 v[2:5], v66 offset:23360
	ds_write_b128 v66, v[10:13] offset:20960
	;; [unrolled: 8-line block ×3, first 2 shown]
	s_waitcnt vmcnt(0) lgkmcnt(1)
	v_mul_f64 v[0:1], v[4:5], v[8:9]
	v_fma_f64 v[0:1], v[2:3], v[6:7], -v[0:1]
	v_mul_f64 v[2:3], v[2:3], v[8:9]
	v_fma_f64 v[2:3], v[4:5], v[6:7], v[2:3]
	ds_write_b128 v66, v[0:3] offset:25760
.LBB0_13:
	s_or_b64 exec, exec, s[4:5]
	s_waitcnt lgkmcnt(0)
	s_barrier
	ds_read_b128 v[36:39], v66
	ds_read_b128 v[40:43], v66 offset:2400
	ds_read_b128 v[28:31], v66 offset:4800
	;; [unrolled: 1-line block ×10, first 2 shown]
	s_and_saveexec_b64 s[2:3], vcc
	s_cbranch_execz .LBB0_15
; %bb.14:
	ds_read_b128 v[240:243], v66 offset:1760
	ds_read_b128 v[248:251], v66 offset:4160
	;; [unrolled: 1-line block ×11, first 2 shown]
.LBB0_15:
	s_or_b64 exec, exec, s[2:3]
	s_waitcnt lgkmcnt(9)
	v_add_f64 v[0:1], v[36:37], v[40:41]
	v_add_f64 v[2:3], v[38:39], v[42:43]
	s_waitcnt lgkmcnt(0)
	v_add_f64 v[46:47], v[42:43], v[70:71]
	v_add_f64 v[42:43], v[42:43], -v[70:71]
	s_mov_b32 s4, 0xf8bb580b
	s_mov_b32 s14, 0x8eee2c13
	;; [unrolled: 1-line block ×4, first 2 shown]
	v_add_f64 v[0:1], v[0:1], v[28:29]
	v_add_f64 v[2:3], v[2:3], v[30:31]
	s_mov_b32 s30, 0xfd768dbf
	s_mov_b32 s5, 0xbfe14ced
	;; [unrolled: 1-line block ×6, first 2 shown]
	v_add_f64 v[0:1], v[0:1], v[20:21]
	v_add_f64 v[2:3], v[2:3], v[22:23]
	;; [unrolled: 1-line block ×3, first 2 shown]
	v_add_f64 v[40:41], v[40:41], -v[68:69]
	v_mul_f64 v[48:49], v[42:43], s[4:5]
	v_mul_f64 v[56:57], v[42:43], s[14:15]
	;; [unrolled: 1-line block ×3, first 2 shown]
	s_mov_b32 s2, 0x8764f0ba
	v_add_f64 v[0:1], v[0:1], v[12:13]
	v_add_f64 v[2:3], v[2:3], v[14:15]
	s_mov_b32 s12, 0xd9c712b6
	s_mov_b32 s16, 0x640f44db
	;; [unrolled: 1-line block ×6, first 2 shown]
	v_add_f64 v[0:1], v[0:1], v[4:5]
	v_add_f64 v[2:3], v[2:3], v[6:7]
	s_mov_b32 s17, 0xbfc2375f
	s_mov_b32 s21, 0xbfe4f49e
	;; [unrolled: 1-line block ×3, first 2 shown]
	v_fma_f64 v[50:51], v[44:45], s[2:3], v[48:49]
	v_mul_f64 v[52:53], v[46:47], s[2:3]
	v_fma_f64 v[48:49], v[44:45], s[2:3], -v[48:49]
	v_add_f64 v[0:1], v[0:1], v[8:9]
	v_add_f64 v[2:3], v[2:3], v[10:11]
	v_fma_f64 v[58:59], v[44:45], s[12:13], v[56:57]
	v_mul_f64 v[60:61], v[46:47], s[12:13]
	v_fma_f64 v[56:57], v[44:45], s[12:13], -v[56:57]
	v_fma_f64 v[77:78], v[44:45], s[20:21], v[75:76]
	v_mul_f64 v[79:80], v[46:47], s[20:21]
	v_fma_f64 v[75:76], v[44:45], s[20:21], -v[75:76]
	v_add_f64 v[0:1], v[0:1], v[16:17]
	v_add_f64 v[2:3], v[2:3], v[18:19]
	s_mov_b32 s25, 0x3fe14ced
	s_mov_b32 s24, s4
	;; [unrolled: 1-line block ×6, first 2 shown]
	v_add_f64 v[0:1], v[0:1], v[24:25]
	v_add_f64 v[2:3], v[2:3], v[26:27]
	s_mov_b32 s39, 0x3fe82f19
	s_mov_b32 s38, s22
	;; [unrolled: 1-line block ×4, first 2 shown]
	v_add_f64 v[50:51], v[36:37], v[50:51]
	v_fma_f64 v[54:55], v[40:41], s[24:25], v[52:53]
	v_add_f64 v[0:1], v[0:1], v[32:33]
	v_add_f64 v[2:3], v[2:3], v[34:35]
	;; [unrolled: 1-line block ×3, first 2 shown]
	v_fma_f64 v[52:53], v[40:41], s[4:5], v[52:53]
	v_add_f64 v[58:59], v[36:37], v[58:59]
	v_fma_f64 v[62:63], v[40:41], s[34:35], v[60:61]
	v_add_f64 v[56:57], v[36:37], v[56:57]
	;; [unrolled: 2-line block ×3, first 2 shown]
	v_mul_f64 v[67:68], v[42:43], s[18:19]
	v_mul_f64 v[42:43], v[42:43], s[30:31]
	v_add_f64 v[2:3], v[2:3], v[70:71]
	v_mul_f64 v[71:72], v[46:47], s[16:17]
	v_mul_f64 v[46:47], v[46:47], s[26:27]
	v_add_f64 v[77:78], v[36:37], v[77:78]
	v_fma_f64 v[81:82], v[40:41], s[38:39], v[79:80]
	v_add_f64 v[75:76], v[36:37], v[75:76]
	v_fma_f64 v[69:70], v[44:45], s[16:17], v[67:68]
	v_fma_f64 v[67:68], v[44:45], s[16:17], -v[67:68]
	v_fma_f64 v[83:84], v[44:45], s[26:27], v[42:43]
	v_fma_f64 v[42:43], v[44:45], s[26:27], -v[42:43]
	v_fma_f64 v[73:74], v[40:41], s[28:29], v[71:72]
	v_fma_f64 v[71:72], v[40:41], s[18:19], v[71:72]
	;; [unrolled: 1-line block ×4, first 2 shown]
	v_add_f64 v[69:70], v[36:37], v[69:70]
	v_add_f64 v[67:68], v[36:37], v[67:68]
	;; [unrolled: 1-line block ×4, first 2 shown]
	v_fma_f64 v[40:41], v[40:41], s[30:31], v[46:47]
	v_add_f64 v[42:43], v[30:31], v[34:35]
	v_add_f64 v[30:31], v[30:31], -v[34:35]
	v_add_f64 v[54:55], v[38:39], v[54:55]
	v_add_f64 v[52:53], v[38:39], v[52:53]
	v_add_f64 v[62:63], v[38:39], v[62:63]
	v_add_f64 v[60:61], v[38:39], v[60:61]
	v_add_f64 v[73:74], v[38:39], v[73:74]
	v_add_f64 v[71:72], v[38:39], v[71:72]
	v_add_f64 v[81:82], v[38:39], v[81:82]
	v_add_f64 v[79:80], v[38:39], v[79:80]
	v_add_f64 v[85:86], v[38:39], v[85:86]
	v_add_f64 v[38:39], v[38:39], v[40:41]
	v_add_f64 v[40:41], v[28:29], v[32:33]
	v_add_f64 v[28:29], v[28:29], -v[32:33]
	v_mul_f64 v[32:33], v[30:31], s[14:15]
	v_mul_f64 v[44:45], v[42:43], s[12:13]
	v_mov_b32_e32 v207, v112
	v_mov_b32_e32 v206, v111
	;; [unrolled: 1-line block ×4, first 2 shown]
	s_barrier
	v_fma_f64 v[34:35], v[40:41], s[12:13], v[32:33]
	v_fma_f64 v[32:33], v[40:41], s[12:13], -v[32:33]
	v_fma_f64 v[46:47], v[28:29], s[34:35], v[44:45]
	v_fma_f64 v[44:45], v[28:29], s[14:15], v[44:45]
	v_add_f64 v[34:35], v[34:35], v[50:51]
	v_add_f64 v[32:33], v[32:33], v[48:49]
	v_mul_f64 v[48:49], v[30:31], s[22:23]
	v_add_f64 v[44:45], v[44:45], v[52:53]
	v_mul_f64 v[52:53], v[42:43], s[20:21]
	v_add_f64 v[46:47], v[46:47], v[54:55]
	v_fma_f64 v[50:51], v[40:41], s[20:21], v[48:49]
	v_fma_f64 v[48:49], v[40:41], s[20:21], -v[48:49]
	v_fma_f64 v[54:55], v[28:29], s[38:39], v[52:53]
	v_fma_f64 v[52:53], v[28:29], s[22:23], v[52:53]
	v_add_f64 v[50:51], v[50:51], v[58:59]
	v_add_f64 v[48:49], v[48:49], v[56:57]
	v_mul_f64 v[56:57], v[30:31], s[36:37]
	v_add_f64 v[52:53], v[52:53], v[60:61]
	v_mul_f64 v[60:61], v[42:43], s[26:27]
	v_add_f64 v[54:55], v[54:55], v[62:63]
	v_fma_f64 v[58:59], v[40:41], s[26:27], v[56:57]
	v_fma_f64 v[56:57], v[40:41], s[26:27], -v[56:57]
	v_fma_f64 v[62:63], v[28:29], s[30:31], v[60:61]
	v_fma_f64 v[60:61], v[28:29], s[36:37], v[60:61]
	v_add_f64 v[58:59], v[58:59], v[69:70]
	v_add_f64 v[56:57], v[56:57], v[67:68]
	v_mul_f64 v[67:68], v[30:31], s[28:29]
	v_add_f64 v[60:61], v[60:61], v[71:72]
	v_mul_f64 v[71:72], v[42:43], s[16:17]
	v_mul_f64 v[42:43], v[42:43], s[2:3]
	v_add_f64 v[62:63], v[62:63], v[73:74]
	v_mul_f64 v[30:31], v[30:31], s[24:25]
	v_fma_f64 v[69:70], v[40:41], s[16:17], v[67:68]
	v_fma_f64 v[67:68], v[40:41], s[16:17], -v[67:68]
	v_fma_f64 v[73:74], v[28:29], s[18:19], v[71:72]
	v_fma_f64 v[71:72], v[28:29], s[28:29], v[71:72]
	v_add_f64 v[69:70], v[69:70], v[77:78]
	v_fma_f64 v[77:78], v[28:29], s[4:5], v[42:43]
	v_fma_f64 v[28:29], v[28:29], s[24:25], v[42:43]
	v_add_f64 v[67:68], v[67:68], v[75:76]
	v_fma_f64 v[75:76], v[40:41], s[2:3], v[30:31]
	v_fma_f64 v[30:31], v[40:41], s[2:3], -v[30:31]
	v_add_f64 v[71:72], v[71:72], v[79:80]
	v_add_f64 v[73:74], v[73:74], v[81:82]
	;; [unrolled: 1-line block ×5, first 2 shown]
	v_add_f64 v[22:23], v[22:23], -v[26:27]
	v_add_f64 v[30:31], v[30:31], v[36:37]
	v_add_f64 v[36:37], v[20:21], v[24:25]
	v_add_f64 v[20:21], v[20:21], -v[24:25]
	v_add_f64 v[75:76], v[75:76], v[83:84]
	v_mul_f64 v[24:25], v[22:23], s[18:19]
	v_fma_f64 v[26:27], v[36:37], s[16:17], v[24:25]
	v_fma_f64 v[24:25], v[36:37], s[16:17], -v[24:25]
	v_add_f64 v[26:27], v[26:27], v[34:35]
	v_mul_f64 v[34:35], v[38:39], s[16:17]
	v_add_f64 v[24:25], v[24:25], v[32:33]
	v_fma_f64 v[40:41], v[20:21], s[28:29], v[34:35]
	v_fma_f64 v[32:33], v[20:21], s[18:19], v[34:35]
	v_mul_f64 v[34:35], v[22:23], s[36:37]
	v_add_f64 v[40:41], v[40:41], v[46:47]
	v_add_f64 v[32:33], v[32:33], v[44:45]
	v_fma_f64 v[42:43], v[36:37], s[26:27], v[34:35]
	v_fma_f64 v[34:35], v[36:37], s[26:27], -v[34:35]
	v_mul_f64 v[44:45], v[38:39], s[26:27]
	v_add_f64 v[42:43], v[42:43], v[50:51]
	v_add_f64 v[34:35], v[34:35], v[48:49]
	v_mul_f64 v[48:49], v[22:23], s[34:35]
	v_fma_f64 v[46:47], v[20:21], s[30:31], v[44:45]
	v_fma_f64 v[44:45], v[20:21], s[36:37], v[44:45]
	;; [unrolled: 1-line block ×3, first 2 shown]
	v_fma_f64 v[48:49], v[36:37], s[12:13], -v[48:49]
	v_add_f64 v[44:45], v[44:45], v[52:53]
	v_mul_f64 v[52:53], v[38:39], s[12:13]
	v_add_f64 v[46:47], v[46:47], v[54:55]
	v_add_f64 v[50:51], v[50:51], v[58:59]
	;; [unrolled: 1-line block ×3, first 2 shown]
	v_mul_f64 v[56:57], v[22:23], s[4:5]
	v_fma_f64 v[54:55], v[20:21], s[14:15], v[52:53]
	v_fma_f64 v[52:53], v[20:21], s[34:35], v[52:53]
	v_mul_f64 v[22:23], v[22:23], s[22:23]
	v_fma_f64 v[58:59], v[36:37], s[2:3], v[56:57]
	v_fma_f64 v[56:57], v[36:37], s[2:3], -v[56:57]
	v_add_f64 v[52:53], v[52:53], v[60:61]
	v_mul_f64 v[60:61], v[38:39], s[2:3]
	v_mul_f64 v[38:39], v[38:39], s[20:21]
	v_add_f64 v[54:55], v[54:55], v[62:63]
	v_add_f64 v[58:59], v[58:59], v[69:70]
	v_add_f64 v[56:57], v[56:57], v[67:68]
	v_fma_f64 v[67:68], v[36:37], s[20:21], v[22:23]
	v_fma_f64 v[22:23], v[36:37], s[20:21], -v[22:23]
	v_fma_f64 v[62:63], v[20:21], s[24:25], v[60:61]
	v_fma_f64 v[60:61], v[20:21], s[4:5], v[60:61]
	;; [unrolled: 1-line block ×4, first 2 shown]
	v_add_f64 v[67:68], v[67:68], v[75:76]
	v_add_f64 v[22:23], v[22:23], v[30:31]
	;; [unrolled: 1-line block ×3, first 2 shown]
	v_add_f64 v[14:15], v[14:15], -v[18:19]
	v_add_f64 v[60:61], v[60:61], v[71:72]
	v_add_f64 v[20:21], v[20:21], v[28:29]
	v_add_f64 v[28:29], v[12:13], v[16:17]
	v_add_f64 v[12:13], v[12:13], -v[16:17]
	v_add_f64 v[62:63], v[62:63], v[73:74]
	v_add_f64 v[69:70], v[69:70], v[77:78]
	v_mul_f64 v[38:39], v[30:31], s[16:17]
	v_mul_f64 v[16:17], v[14:15], s[22:23]
	v_add_f64 v[71:72], v[158:159], -v[166:167]
	v_fma_f64 v[18:19], v[28:29], s[20:21], v[16:17]
	v_fma_f64 v[16:17], v[28:29], s[20:21], -v[16:17]
	v_mul_f64 v[97:98], v[71:72], s[22:23]
	v_add_f64 v[18:19], v[18:19], v[26:27]
	v_mul_f64 v[26:27], v[30:31], s[20:21]
	v_add_f64 v[24:25], v[16:17], v[24:25]
	v_fma_f64 v[16:17], v[12:13], s[22:23], v[26:27]
	v_fma_f64 v[36:37], v[12:13], s[38:39], v[26:27]
	v_add_f64 v[26:27], v[16:17], v[32:33]
	v_mul_f64 v[16:17], v[14:15], s[28:29]
	v_add_f64 v[36:37], v[36:37], v[40:41]
	v_fma_f64 v[40:41], v[12:13], s[18:19], v[38:39]
	v_fma_f64 v[32:33], v[28:29], s[16:17], v[16:17]
	v_fma_f64 v[16:17], v[28:29], s[16:17], -v[16:17]
	v_add_f64 v[40:41], v[40:41], v[46:47]
	v_add_f64 v[32:33], v[32:33], v[42:43]
	;; [unrolled: 1-line block ×3, first 2 shown]
	v_fma_f64 v[16:17], v[12:13], s[28:29], v[38:39]
	v_add_f64 v[38:39], v[16:17], v[44:45]
	v_mul_f64 v[16:17], v[14:15], s[4:5]
	v_mul_f64 v[44:45], v[30:31], s[2:3]
	v_fma_f64 v[42:43], v[28:29], s[2:3], v[16:17]
	v_fma_f64 v[16:17], v[28:29], s[2:3], -v[16:17]
	v_fma_f64 v[46:47], v[12:13], s[24:25], v[44:45]
	v_add_f64 v[42:43], v[42:43], v[50:51]
	v_add_f64 v[48:49], v[16:17], v[48:49]
	v_fma_f64 v[16:17], v[12:13], s[4:5], v[44:45]
	v_add_f64 v[46:47], v[46:47], v[54:55]
	v_add_f64 v[44:45], v[16:17], v[52:53]
	v_mul_f64 v[16:17], v[14:15], s[30:31]
	v_mul_f64 v[52:53], v[30:31], s[26:27]
	;; [unrolled: 1-line block ×3, first 2 shown]
	v_fma_f64 v[50:51], v[28:29], s[26:27], v[16:17]
	v_fma_f64 v[16:17], v[28:29], s[26:27], -v[16:17]
	v_fma_f64 v[54:55], v[12:13], s[36:37], v[52:53]
	v_add_f64 v[50:51], v[50:51], v[58:59]
	v_add_f64 v[56:57], v[16:17], v[56:57]
	v_fma_f64 v[16:17], v[12:13], s[30:31], v[52:53]
	v_add_f64 v[54:55], v[54:55], v[62:63]
	v_add_f64 v[62:63], v[4:5], v[8:9]
	v_add_f64 v[4:5], v[4:5], -v[8:9]
	v_add_f64 v[52:53], v[16:17], v[60:61]
	v_fma_f64 v[16:17], v[28:29], s[12:13], v[14:15]
	v_fma_f64 v[14:15], v[28:29], s[12:13], -v[14:15]
	v_add_f64 v[58:59], v[16:17], v[67:68]
	v_add_f64 v[67:68], v[6:7], v[10:11]
	v_add_f64 v[6:7], v[6:7], -v[10:11]
	v_mul_f64 v[16:17], v[30:31], s[12:13]
	v_add_f64 v[28:29], v[14:15], v[22:23]
	v_mul_f64 v[8:9], v[6:7], s[30:31]
	v_fma_f64 v[30:31], v[12:13], s[14:15], v[16:17]
	v_fma_f64 v[12:13], v[12:13], s[34:35], v[16:17]
	;; [unrolled: 1-line block ×3, first 2 shown]
	v_fma_f64 v[8:9], v[62:63], s[26:27], -v[8:9]
	v_add_f64 v[60:61], v[12:13], v[20:21]
	v_add_f64 v[30:31], v[30:31], v[69:70]
	;; [unrolled: 1-line block ×4, first 2 shown]
	v_mul_f64 v[10:11], v[67:68], s[26:27]
	v_fma_f64 v[12:13], v[4:5], s[36:37], v[10:11]
	v_add_f64 v[18:19], v[12:13], v[36:37]
	v_add_f64 v[12:13], v[8:9], v[24:25]
	v_fma_f64 v[8:9], v[4:5], s[30:31], v[10:11]
	v_add_f64 v[36:37], v[254:255], v[150:151]
	v_add_f64 v[14:15], v[8:9], v[26:27]
	v_mul_f64 v[8:9], v[6:7], s[24:25]
	v_fma_f64 v[10:11], v[62:63], s[2:3], v[8:9]
	v_fma_f64 v[8:9], v[62:63], s[2:3], -v[8:9]
	v_add_f64 v[24:25], v[10:11], v[32:33]
	v_mul_f64 v[10:11], v[67:68], s[2:3]
	v_fma_f64 v[20:21], v[4:5], s[4:5], v[10:11]
	v_add_f64 v[26:27], v[20:21], v[40:41]
	v_add_f64 v[20:21], v[8:9], v[34:35]
	v_fma_f64 v[8:9], v[4:5], s[24:25], v[10:11]
	v_add_f64 v[34:35], v[252:253], v[148:149]
	v_add_f64 v[40:41], v[252:253], -v[148:149]
	v_add_f64 v[22:23], v[8:9], v[38:39]
	v_mul_f64 v[8:9], v[6:7], s[22:23]
	v_add_f64 v[38:39], v[248:249], -v[144:145]
	v_mul_f64 v[83:84], v[40:41], s[36:37]
	v_mul_f64 v[87:88], v[40:41], s[28:29]
	v_fma_f64 v[10:11], v[62:63], s[20:21], v[8:9]
	v_fma_f64 v[8:9], v[62:63], s[20:21], -v[8:9]
	v_mul_f64 v[73:74], v[38:39], s[18:19]
	v_mul_f64 v[79:80], v[38:39], s[22:23]
	v_add_f64 v[115:116], v[10:11], v[42:43]
	v_mul_f64 v[10:11], v[67:68], s[20:21]
	v_add_f64 v[119:120], v[8:9], v[48:49]
	v_add_f64 v[42:43], v[254:255], -v[150:151]
	v_add_f64 v[48:49], v[244:245], -v[152:153]
	v_fma_f64 v[8:9], v[4:5], s[22:23], v[10:11]
	v_fma_f64 v[32:33], v[4:5], s[38:39], v[10:11]
	v_mul_f64 v[75:76], v[42:43], s[36:37]
	v_mul_f64 v[85:86], v[42:43], s[28:29]
	;; [unrolled: 1-line block ×4, first 2 shown]
	v_add_f64 v[121:122], v[8:9], v[44:45]
	v_mul_f64 v[8:9], v[6:7], s[34:35]
	v_mul_f64 v[6:7], v[6:7], s[18:19]
	v_add_f64 v[117:118], v[32:33], v[46:47]
	v_fma_f64 v[46:47], v[34:35], s[26:27], v[75:76]
	v_fma_f64 v[10:11], v[62:63], s[12:13], v[8:9]
	v_fma_f64 v[8:9], v[62:63], s[12:13], -v[8:9]
	v_add_f64 v[111:112], v[10:11], v[50:51]
	v_mul_f64 v[10:11], v[67:68], s[12:13]
	v_add_f64 v[125:126], v[8:9], v[56:57]
	v_add_f64 v[50:51], v[246:247], -v[154:155]
	v_add_f64 v[56:57], v[204:205], -v[160:161]
	v_fma_f64 v[8:9], v[4:5], s[34:35], v[10:11]
	v_fma_f64 v[32:33], v[4:5], s[14:15], v[10:11]
	v_mul_f64 v[81:82], v[50:51], s[34:35]
	v_mul_f64 v[93:94], v[50:51], s[4:5]
	;; [unrolled: 1-line block ×4, first 2 shown]
	v_add_f64 v[127:128], v[8:9], v[52:53]
	v_fma_f64 v[8:9], v[62:63], s[16:17], v[6:7]
	v_add_f64 v[113:114], v[32:33], v[54:55]
	v_fma_f64 v[6:7], v[62:63], s[16:17], -v[6:7]
	v_add_f64 v[32:33], v[250:251], -v[146:147]
	v_add_f64 v[52:53], v[204:205], v[160:161]
	v_add_f64 v[54:55], v[206:207], v[162:163]
	v_add_f64 v[62:63], v[158:159], v[166:167]
	v_add_f64 v[129:130], v[8:9], v[58:59]
	v_mul_f64 v[8:9], v[67:68], s[16:17]
	v_add_f64 v[133:134], v[6:7], v[28:29]
	v_add_f64 v[28:29], v[248:249], v[144:145]
	v_mul_f64 v[44:45], v[32:33], s[18:19]
	v_mul_f64 v[77:78], v[32:33], s[22:23]
	v_add_f64 v[67:68], v[244:245], v[152:153]
	v_add_f64 v[58:59], v[156:157], v[164:165]
	v_fma_f64 v[10:11], v[4:5], s[28:29], v[8:9]
	v_fma_f64 v[4:5], v[4:5], s[18:19], v[8:9]
	;; [unrolled: 1-line block ×4, first 2 shown]
	v_add_f64 v[131:132], v[10:11], v[30:31]
	v_add_f64 v[135:136], v[4:5], v[60:61]
	;; [unrolled: 1-line block ×3, first 2 shown]
	v_fma_f64 v[4:5], v[28:29], s[16:17], v[44:45]
	v_add_f64 v[8:9], v[240:241], v[8:9]
	v_add_f64 v[60:61], v[206:207], -v[162:163]
	ds_write_b128 v124, v[0:3]
	ds_write_b128 v124, v[16:19] offset:16
	ds_write_b128 v124, v[24:27] offset:32
	;; [unrolled: 1-line block ×10, first 2 shown]
	v_fma_f64 v[6:7], v[30:31], s[16:17], -v[73:74]
	v_add_f64 v[4:5], v[240:241], v[4:5]
	v_fma_f64 v[10:11], v[30:31], s[20:21], -v[79:80]
	v_mul_f64 v[89:90], v[60:61], s[4:5]
	v_mul_f64 v[101:102], v[60:61], s[30:31]
	v_add_f64 v[6:7], v[242:243], v[6:7]
	v_add_f64 v[4:5], v[46:47], v[4:5]
	v_fma_f64 v[46:47], v[36:37], s[26:27], -v[83:84]
	v_add_f64 v[10:11], v[242:243], v[10:11]
	v_add_f64 v[6:7], v[46:47], v[6:7]
	v_fma_f64 v[46:47], v[34:35], s[16:17], v[85:86]
	v_add_f64 v[8:9], v[46:47], v[8:9]
	v_fma_f64 v[46:47], v[36:37], s[16:17], -v[87:88]
	v_add_f64 v[10:11], v[46:47], v[10:11]
	v_fma_f64 v[46:47], v[67:68], s[12:13], v[81:82]
	v_add_f64 v[4:5], v[46:47], v[4:5]
	v_fma_f64 v[46:47], v[69:70], s[12:13], -v[91:92]
	;; [unrolled: 4-line block ×4, first 2 shown]
	v_add_f64 v[4:5], v[105:106], v[4:5]
	v_add_f64 v[6:7], v[46:47], v[6:7]
	v_fma_f64 v[46:47], v[52:53], s[26:27], v[101:102]
	v_add_f64 v[8:9], v[46:47], v[8:9]
	v_fma_f64 v[46:47], v[54:55], s[26:27], -v[103:104]
	v_add_f64 v[10:11], v[46:47], v[10:11]
	v_add_f64 v[46:47], v[156:157], -v[164:165]
	v_mul_f64 v[105:106], v[46:47], s[22:23]
	v_fma_f64 v[107:108], v[62:63], s[20:21], -v[105:106]
	v_add_f64 v[6:7], v[107:108], v[6:7]
	v_mul_f64 v[107:108], v[71:72], s[34:35]
	v_fma_f64 v[109:110], v[58:59], s[12:13], v[107:108]
	v_add_f64 v[8:9], v[109:110], v[8:9]
	v_mul_f64 v[109:110], v[46:47], s[34:35]
	v_fma_f64 v[137:138], v[62:63], s[12:13], -v[109:110]
	v_add_f64 v[10:11], v[137:138], v[10:11]
	s_and_saveexec_b64 s[38:39], vcc
	s_cbranch_execz .LBB0_17
; %bb.16:
	v_mul_f64 v[2:3], v[38:39], s[30:31]
	v_mul_f64 v[115:116], v[32:33], s[30:31]
	buffer_store_dword v123, off, s[44:47], 0 offset:656 ; 4-byte Folded Spill
	buffer_store_dword v139, off, s[44:47], 0 offset:700 ; 4-byte Folded Spill
	;; [unrolled: 1-line block ×3, first 2 shown]
	s_nop 0
	buffer_store_dword v236, off, s[44:47], 0 offset:688 ; 4-byte Folded Spill
	buffer_store_dword v237, off, s[44:47], 0 offset:692 ; 4-byte Folded Spill
	;; [unrolled: 1-line block ×3, first 2 shown]
	v_mov_b32_e32 v239, v234
	v_mov_b32_e32 v238, v233
	;; [unrolled: 1-line block ×5, first 2 shown]
	v_mul_f64 v[119:120], v[40:41], s[24:25]
	v_fma_f64 v[121:122], v[30:31], s[26:27], v[2:3]
	v_mul_f64 v[130:131], v[42:43], s[24:25]
	v_fma_f64 v[132:133], v[28:29], s[26:27], -v[115:116]
	v_mov_b32_e32 v234, v229
	v_mov_b32_e32 v233, v228
	;; [unrolled: 1-line block ×25, first 2 shown]
	buffer_store_dword v189, off, s[44:47], 0 offset:660 ; 4-byte Folded Spill
	buffer_store_dword v190, off, s[44:47], 0 offset:664 ; 4-byte Folded Spill
	;; [unrolled: 1-line block ×6, first 2 shown]
	v_mov_b32_e32 v210, v197
	v_mov_b32_e32 v209, v196
	;; [unrolled: 1-line block ×19, first 2 shown]
	v_mul_f64 v[134:135], v[48:49], s[22:23]
	v_fma_f64 v[136:137], v[36:37], s[2:3], v[119:120]
	v_add_f64 v[121:122], v[242:243], v[121:122]
	v_mov_b32_e32 v178, v146
	v_mov_b32_e32 v177, v145
	;; [unrolled: 1-line block ×3, first 2 shown]
	v_mul_f64 v[144:145], v[50:51], s[22:23]
	v_fma_f64 v[2:3], v[30:31], s[26:27], -v[2:3]
	v_fma_f64 v[146:147], v[34:35], s[2:3], -v[130:131]
	v_add_f64 v[132:133], v[240:241], v[132:133]
	v_mov_b32_e32 v199, v184
	v_mov_b32_e32 v198, v183
	;; [unrolled: 1-line block ×14, first 2 shown]
	v_fma_f64 v[150:151], v[69:70], s[20:21], v[134:135]
	v_add_f64 v[121:122], v[136:137], v[121:122]
	v_mul_f64 v[136:137], v[60:61], s[34:35]
	v_fma_f64 v[119:120], v[36:37], s[2:3], -v[119:120]
	v_add_f64 v[2:3], v[242:243], v[2:3]
	v_mov_b32_e32 v170, v154
	v_mov_b32_e32 v169, v153
	;; [unrolled: 1-line block ×3, first 2 shown]
	v_fma_f64 v[152:153], v[67:68], s[20:21], -v[144:145]
	v_add_f64 v[132:133], v[146:147], v[132:133]
	v_add_f64 v[121:122], v[150:151], v[121:122]
	v_mul_f64 v[150:151], v[71:72], s[18:19]
	v_fma_f64 v[134:135], v[69:70], s[20:21], -v[134:135]
	v_add_f64 v[2:3], v[119:120], v[2:3]
	v_fma_f64 v[119:120], v[52:53], s[12:13], -v[136:137]
	v_mul_f64 v[14:15], v[28:29], s[20:21]
	v_mul_f64 v[0:1], v[30:31], s[20:21]
	v_add_f64 v[132:133], v[152:153], v[132:133]
	v_fma_f64 v[115:116], v[28:29], s[26:27], v[115:116]
	v_mul_f64 v[16:17], v[30:31], s[16:17]
	v_mul_f64 v[22:23], v[34:35], s[16:17]
	v_add_f64 v[2:3], v[134:135], v[2:3]
	v_fma_f64 v[134:135], v[58:59], s[16:17], -v[150:151]
	v_mul_f64 v[24:25], v[36:37], s[16:17]
	v_add_f64 v[79:80], v[79:80], v[0:1]
	v_add_f64 v[119:120], v[119:120], v[132:133]
	v_add_f64 v[77:78], v[14:15], -v[77:78]
	v_add_f64 v[115:116], v[240:241], v[115:116]
	v_mul_f64 v[20:21], v[36:37], s[26:27]
	v_mul_f64 v[113:114], v[67:68], s[2:3]
	v_mul_f64 v[117:118], v[69:70], s[2:3]
	v_add_f64 v[24:25], v[87:88], v[24:25]
	v_add_f64 v[79:80], v[242:243], v[79:80]
	;; [unrolled: 1-line block ×3, first 2 shown]
	v_fma_f64 v[119:120], v[34:35], s[2:3], v[130:131]
	v_fma_f64 v[87:88], v[67:68], s[20:21], v[144:145]
	v_add_f64 v[16:17], v[73:74], v[16:17]
	v_add_f64 v[22:23], v[22:23], -v[85:86]
	v_add_f64 v[73:74], v[240:241], v[77:78]
	v_mul_f64 v[12:13], v[28:29], s[16:17]
	v_mul_f64 v[111:112], v[69:70], s[12:13]
	;; [unrolled: 1-line block ×3, first 2 shown]
	v_add_f64 v[77:78], v[119:120], v[115:116]
	v_mul_f64 v[138:139], v[54:55], s[26:27]
	v_mul_f64 v[148:149], v[56:57], s[34:35]
	v_add_f64 v[85:86], v[95:96], v[117:118]
	v_add_f64 v[24:25], v[24:25], v[79:80]
	v_fma_f64 v[79:80], v[52:53], s[12:13], v[136:137]
	v_add_f64 v[20:21], v[83:84], v[20:21]
	v_add_f64 v[16:17], v[242:243], v[16:17]
	v_add_f64 v[83:84], v[113:114], -v[93:94]
	v_add_f64 v[22:23], v[22:23], v[73:74]
	v_add_f64 v[73:74], v[87:88], v[77:78]
	v_mul_f64 v[18:19], v[34:35], s[26:27]
	v_mul_f64 v[126:127], v[54:55], s[2:3]
	v_fma_f64 v[154:155], v[54:55], s[12:13], v[148:149]
	v_mul_f64 v[132:133], v[58:59], s[12:13]
	v_add_f64 v[77:78], v[103:104], v[138:139]
	v_add_f64 v[24:25], v[85:86], v[24:25]
	v_fma_f64 v[85:86], v[58:59], s[16:17], v[150:151]
	v_add_f64 v[87:88], v[91:92], v[111:112]
	v_add_f64 v[16:17], v[20:21], v[16:17]
	v_add_f64 v[20:21], v[128:129], -v[101:102]
	v_add_f64 v[22:23], v[83:84], v[22:23]
	v_add_f64 v[73:74], v[79:80], v[73:74]
	v_add_f64 v[44:45], v[12:13], -v[44:45]
	v_mul_f64 v[26:27], v[67:68], s[12:13]
	v_add_f64 v[121:122], v[154:155], v[121:122]
	v_mul_f64 v[154:155], v[62:63], s[12:13]
	v_add_f64 v[24:25], v[77:78], v[24:25]
	v_add_f64 v[77:78], v[99:100], v[126:127]
	;; [unrolled: 1-line block ×3, first 2 shown]
	v_add_f64 v[83:84], v[132:133], -v[107:108]
	v_add_f64 v[20:21], v[20:21], v[22:23]
	v_add_f64 v[12:13], v[85:86], v[73:74]
	v_add_f64 v[73:74], v[18:19], -v[75:76]
	v_add_f64 v[44:45], v[240:241], v[44:45]
	v_mov_b32_e32 v175, v159
	v_mul_f64 v[124:125], v[52:53], s[2:3]
	v_mov_b32_e32 v174, v158
	v_mov_b32_e32 v173, v157
	;; [unrolled: 1-line block ×3, first 2 shown]
	v_mul_f64 v[156:157], v[62:63], s[20:21]
	v_add_f64 v[79:80], v[109:110], v[154:155]
	v_add_f64 v[77:78], v[77:78], v[16:17]
	;; [unrolled: 1-line block ×3, first 2 shown]
	v_add_f64 v[20:21], v[26:27], -v[81:82]
	v_add_f64 v[44:45], v[73:74], v[44:45]
	v_mul_f64 v[75:76], v[38:39], s[14:15]
	v_add_f64 v[73:74], v[124:125], -v[89:90]
	v_add_f64 v[22:23], v[105:106], v[156:157]
	v_add_f64 v[18:19], v[79:80], v[24:25]
	v_mul_f64 v[24:25], v[32:33], s[14:15]
	v_mul_f64 v[26:27], v[40:41], s[22:23]
	;; [unrolled: 1-line block ×3, first 2 shown]
	v_add_f64 v[20:21], v[20:21], v[44:45]
	v_fma_f64 v[79:80], v[30:31], s[12:13], v[75:76]
	v_mul_f64 v[83:84], v[48:49], s[36:37]
	v_add_f64 v[22:23], v[22:23], v[77:78]
	v_mul_f64 v[77:78], v[42:43], s[22:23]
	v_fma_f64 v[81:82], v[28:29], s[12:13], -v[24:25]
	v_fma_f64 v[85:86], v[36:37], s[20:21], v[26:27]
	v_mul_f64 v[87:88], v[50:51], s[36:37]
	v_add_f64 v[20:21], v[73:74], v[20:21]
	v_fma_f64 v[73:74], v[30:31], s[12:13], -v[75:76]
	v_add_f64 v[79:80], v[242:243], v[79:80]
	v_fma_f64 v[26:27], v[36:37], s[20:21], -v[26:27]
	v_fma_f64 v[89:90], v[34:35], s[20:21], -v[77:78]
	v_add_f64 v[81:82], v[240:241], v[81:82]
	v_add_f64 v[44:45], v[152:153], -v[97:98]
	v_mul_f64 v[91:92], v[56:57], s[28:29]
	v_fma_f64 v[93:94], v[69:70], s[26:27], v[83:84]
	v_add_f64 v[73:74], v[242:243], v[73:74]
	v_add_f64 v[79:80], v[85:86], v[79:80]
	v_fma_f64 v[85:86], v[67:68], s[26:27], -v[87:88]
	v_fma_f64 v[83:84], v[69:70], s[26:27], -v[83:84]
	v_add_f64 v[81:82], v[89:90], v[81:82]
	v_mul_f64 v[89:90], v[46:47], s[24:25]
	v_fma_f64 v[24:25], v[28:29], s[12:13], v[24:25]
	v_fma_f64 v[95:96], v[54:55], s[16:17], v[91:92]
	v_add_f64 v[26:27], v[26:27], v[73:74]
	v_add_f64 v[20:21], v[44:45], v[20:21]
	v_fma_f64 v[77:78], v[34:35], s[20:21], v[77:78]
	v_add_f64 v[79:80], v[93:94], v[79:80]
	v_add_f64 v[81:82], v[85:86], v[81:82]
	v_fma_f64 v[44:45], v[62:63], s[2:3], v[89:90]
	v_fma_f64 v[85:86], v[54:55], s[16:17], -v[91:92]
	v_add_f64 v[24:25], v[240:241], v[24:25]
	v_add_f64 v[26:27], v[83:84], v[26:27]
	v_fma_f64 v[83:84], v[62:63], s[2:3], -v[89:90]
	v_add_f64 v[89:90], v[242:243], v[250:251]
	v_add_f64 v[91:92], v[240:241], v[248:249]
	v_mul_f64 v[38:39], v[38:39], s[4:5]
	v_add_f64 v[73:74], v[95:96], v[79:80]
	v_mul_f64 v[40:41], v[40:41], s[14:15]
	v_add_f64 v[24:25], v[77:78], v[24:25]
	v_add_f64 v[26:27], v[85:86], v[26:27]
	v_mul_f64 v[32:33], v[32:33], s[4:5]
	v_add_f64 v[77:78], v[89:90], v[254:255]
	v_add_f64 v[85:86], v[91:92], v[252:253]
	v_fma_f64 v[95:96], v[30:31], s[2:3], v[38:39]
	v_fma_f64 v[30:31], v[30:31], s[2:3], -v[38:39]
	v_mul_f64 v[38:39], v[42:43], s[14:15]
	v_mul_f64 v[48:49], v[48:49], s[18:19]
	v_add_f64 v[26:27], v[83:84], v[26:27]
	v_fma_f64 v[89:90], v[36:37], s[12:13], v[40:41]
	v_add_f64 v[77:78], v[77:78], v[246:247]
	v_add_f64 v[83:84], v[85:86], v[244:245]
	v_mul_f64 v[56:57], v[56:57], s[22:23]
	v_add_f64 v[30:31], v[242:243], v[30:31]
	v_mul_f64 v[50:51], v[50:51], s[18:19]
	v_mul_f64 v[75:76], v[60:61], s[28:29]
	;; [unrolled: 1-line block ×4, first 2 shown]
	v_add_f64 v[77:78], v[77:78], v[206:207]
	v_add_f64 v[83:84], v[83:84], v[204:205]
	v_fma_f64 v[87:88], v[67:68], s[26:27], v[87:88]
	v_fma_f64 v[85:86], v[69:70], s[16:17], v[48:49]
	v_mul_f64 v[71:72], v[71:72], s[30:31]
	v_fma_f64 v[97:98], v[52:53], s[16:17], -v[75:76]
	v_fma_f64 v[75:76], v[52:53], s[16:17], v[75:76]
	v_fma_f64 v[148:149], v[54:55], s[12:13], -v[148:149]
	v_add_f64 v[42:43], v[77:78], v[174:175]
	v_add_f64 v[77:78], v[83:84], v[172:173]
	v_fma_f64 v[83:84], v[28:29], s[2:3], v[32:33]
	v_fma_f64 v[28:29], v[28:29], s[2:3], -v[32:33]
	v_fma_f64 v[32:33], v[36:37], s[12:13], -v[40:41]
	v_fma_f64 v[36:37], v[34:35], s[12:13], v[38:39]
	v_fma_f64 v[34:35], v[34:35], s[12:13], -v[38:39]
	v_fma_f64 v[38:39], v[69:70], s[16:17], -v[48:49]
	v_add_f64 v[40:41], v[42:43], v[166:167]
	v_add_f64 v[42:43], v[77:78], v[164:165]
	;; [unrolled: 1-line block ×5, first 2 shown]
	v_fma_f64 v[32:33], v[67:68], s[16:17], v[50:51]
	v_fma_f64 v[48:49], v[67:68], s[16:17], -v[50:51]
	v_add_f64 v[24:25], v[87:88], v[24:25]
	v_add_f64 v[40:41], v[40:41], v[162:163]
	;; [unrolled: 1-line block ×5, first 2 shown]
	v_fma_f64 v[34:35], v[54:55], s[20:21], -v[56:57]
	v_add_f64 v[30:31], v[38:39], v[30:31]
	v_fma_f64 v[38:39], v[52:53], s[20:21], v[60:61]
	v_fma_f64 v[50:51], v[58:59], s[26:27], v[71:72]
	v_add_f64 v[40:41], v[40:41], v[170:171]
	v_add_f64 v[42:43], v[42:43], v[168:169]
	v_add_f64 v[32:33], v[32:33], v[36:37]
	v_mov_b32_e32 v169, v184
	v_mov_b32_e32 v170, v185
	v_add_f64 v[30:31], v[34:35], v[30:31]
	v_mov_b32_e32 v171, v186
	v_mov_b32_e32 v172, v187
	v_add_f64 v[34:35], v[40:41], v[182:183]
	v_add_f64 v[40:41], v[42:43], v[180:181]
	;; [unrolled: 1-line block ×3, first 2 shown]
	v_mov_b32_e32 v181, v196
	v_fma_f64 v[36:37], v[52:53], s[20:21], -v[60:61]
	v_add_f64 v[28:29], v[48:49], v[28:29]
	v_mov_b32_e32 v182, v197
	v_mov_b32_e32 v183, v198
	v_add_f64 v[34:35], v[34:35], v[178:179]
	v_add_f64 v[32:33], v[40:41], v[176:177]
	v_mov_b32_e32 v180, v143
	v_mov_b32_e32 v179, v142
	;; [unrolled: 1-line block ×46, first 2 shown]
	buffer_load_dword v194, off, s[44:47], 0 offset:680 ; 4-byte Folded Reload
	buffer_load_dword v193, off, s[44:47], 0 offset:676 ; 4-byte Folded Reload
	;; [unrolled: 1-line block ×6, first 2 shown]
	v_mov_b32_e32 v232, v237
	v_mov_b32_e32 v233, v238
	;; [unrolled: 1-line block ×3, first 2 shown]
	buffer_load_dword v235, off, s[44:47], 0 offset:684 ; 4-byte Folded Reload
	buffer_load_dword v236, off, s[44:47], 0 offset:688 ; 4-byte Folded Reload
	;; [unrolled: 1-line block ×4, first 2 shown]
	v_add_f64 v[24:25], v[75:76], v[24:25]
	v_fma_f64 v[75:76], v[54:55], s[20:21], v[56:57]
	v_add_f64 v[54:55], v[36:37], v[28:29]
	v_add_f64 v[28:29], v[50:51], v[38:39]
	;; [unrolled: 1-line block ×3, first 2 shown]
	buffer_load_dword v44, off, s[44:47], 0 offset:700 ; 4-byte Folded Reload
	v_mov_b32_e32 v168, v123
	buffer_load_dword v123, off, s[44:47], 0 offset:656 ; 4-byte Folded Reload
	v_add_f64 v[91:92], v[242:243], v[95:96]
	v_mul_f64 v[146:147], v[46:47], s[18:19]
	v_mul_f64 v[46:47], v[46:47], s[30:31]
	v_add_f64 v[148:149], v[148:149], v[2:3]
	v_fma_f64 v[79:80], v[58:59], s[2:3], -v[93:94]
	v_add_f64 v[81:82], v[97:98], v[81:82]
	v_fma_f64 v[52:53], v[58:59], s[26:27], -v[71:72]
	v_add_f64 v[87:88], v[89:90], v[91:92]
	v_fma_f64 v[89:90], v[58:59], s[2:3], v[93:94]
	v_fma_f64 v[48:49], v[62:63], s[26:27], -v[46:47]
	v_fma_f64 v[158:159], v[62:63], s[16:17], v[146:147]
	v_fma_f64 v[146:147], v[62:63], s[16:17], -v[146:147]
	v_fma_f64 v[42:43], v[62:63], s[26:27], v[46:47]
	v_add_f64 v[36:37], v[79:80], v[81:82]
	v_add_f64 v[40:41], v[52:53], v[54:55]
	v_add_f64 v[85:86], v[85:86], v[87:88]
	v_add_f64 v[24:25], v[89:90], v[24:25]
	v_add_f64 v[30:31], v[48:49], v[30:31]
	v_add_f64 v[2:3], v[158:159], v[121:122]
	v_add_f64 v[14:15], v[146:147], v[148:149]
	v_add_f64 v[46:47], v[75:76], v[85:86]
	v_add_f64 v[42:43], v[42:43], v[46:47]
	s_waitcnt vmcnt(1)
	v_lshlrev_b32_e32 v44, 4, v44
	ds_write_b128 v44, v[32:35]
	ds_write_b128 v44, v[28:31] offset:16
	ds_write_b128 v44, v[24:27] offset:32
	;; [unrolled: 1-line block ×10, first 2 shown]
.LBB0_17:
	s_or_b64 exec, exec, s[38:39]
	s_waitcnt vmcnt(0) lgkmcnt(0)
	s_barrier
	ds_read_b128 v[32:35], v66
	ds_read_b128 v[28:31], v66 offset:1760
	ds_read_b128 v[56:59], v66 offset:14960
	;; [unrolled: 1-line block ×13, first 2 shown]
	s_and_saveexec_b64 s[2:3], s[0:1]
	s_cbranch_execz .LBB0_19
; %bb.18:
	ds_read_b128 v[4:7], v66 offset:12320
	ds_read_b128 v[8:11], v66 offset:25520
.LBB0_19:
	s_or_b64 exec, exec, s[2:3]
	buffer_load_dword v69, off, s[44:47], 0 offset:252 ; 4-byte Folded Reload
	buffer_load_dword v70, off, s[44:47], 0 offset:256 ; 4-byte Folded Reload
	;; [unrolled: 1-line block ×4, first 2 shown]
	s_waitcnt vmcnt(0) lgkmcnt(3)
	v_mul_f64 v[67:68], v[71:72], v[62:63]
	v_fma_f64 v[67:68], v[69:70], v[60:61], v[67:68]
	v_mul_f64 v[60:61], v[71:72], v[60:61]
	v_fma_f64 v[60:61], v[69:70], v[62:63], -v[60:61]
	buffer_load_dword v69, off, s[44:47], 0 offset:236 ; 4-byte Folded Reload
	buffer_load_dword v70, off, s[44:47], 0 offset:240 ; 4-byte Folded Reload
	;; [unrolled: 1-line block ×4, first 2 shown]
	s_waitcnt vmcnt(0) lgkmcnt(0)
	s_barrier
	v_mul_f64 v[62:63], v[71:72], v[58:59]
	v_fma_f64 v[62:63], v[69:70], v[56:57], v[62:63]
	v_mul_f64 v[56:57], v[71:72], v[56:57]
	v_fma_f64 v[56:57], v[69:70], v[58:59], -v[56:57]
	v_mul_f64 v[58:59], v[179:180], v[54:55]
	v_fma_f64 v[58:59], v[177:178], v[52:53], v[58:59]
	v_mul_f64 v[52:53], v[179:180], v[52:53]
	v_fma_f64 v[52:53], v[177:178], v[54:55], -v[52:53]
	;; [unrolled: 4-line block ×3, first 2 shown]
	v_mul_f64 v[48:49], v[187:188], v[46:47]
	v_add_f64 v[50:51], v[22:23], -v[50:51]
	v_fma_f64 v[69:70], v[185:186], v[44:45], v[48:49]
	v_mul_f64 v[44:45], v[187:188], v[44:45]
	v_add_f64 v[48:49], v[20:21], -v[54:55]
	v_fma_f64 v[22:23], v[22:23], 2.0, -v[50:51]
	v_fma_f64 v[71:72], v[185:186], v[46:47], -v[44:45]
	v_mul_f64 v[44:45], v[142:143], v[42:43]
	v_add_f64 v[46:47], v[26:27], -v[52:53]
	v_fma_f64 v[20:21], v[20:21], 2.0, -v[48:49]
	v_add_f64 v[52:53], v[16:17], -v[69:70]
	v_add_f64 v[54:55], v[18:19], -v[71:72]
	v_fma_f64 v[73:74], v[140:141], v[40:41], v[44:45]
	v_mul_f64 v[40:41], v[142:143], v[40:41]
	v_add_f64 v[44:45], v[24:25], -v[58:59]
	v_fma_f64 v[26:27], v[26:27], 2.0, -v[46:47]
	v_fma_f64 v[16:17], v[16:17], 2.0, -v[52:53]
	;; [unrolled: 1-line block ×3, first 2 shown]
	v_fma_f64 v[75:76], v[140:141], v[42:43], -v[40:41]
	v_mul_f64 v[40:41], v[183:184], v[38:39]
	v_add_f64 v[42:43], v[30:31], -v[56:57]
	v_fma_f64 v[24:25], v[24:25], 2.0, -v[44:45]
	v_add_f64 v[56:57], v[12:13], -v[73:74]
	v_add_f64 v[58:59], v[14:15], -v[75:76]
	v_fma_f64 v[77:78], v[181:182], v[36:37], v[40:41]
	v_mul_f64 v[36:37], v[183:184], v[36:37]
	v_add_f64 v[40:41], v[28:29], -v[62:63]
	v_fma_f64 v[30:31], v[30:31], 2.0, -v[42:43]
	v_fma_f64 v[12:13], v[12:13], 2.0, -v[56:57]
	;; [unrolled: 1-line block ×3, first 2 shown]
	v_fma_f64 v[79:80], v[181:182], v[38:39], -v[36:37]
	v_add_f64 v[36:37], v[32:33], -v[67:68]
	v_add_f64 v[38:39], v[34:35], -v[60:61]
	v_fma_f64 v[28:29], v[28:29], 2.0, -v[40:41]
	v_add_f64 v[60:61], v[0:1], -v[77:78]
	v_add_f64 v[62:63], v[2:3], -v[79:80]
	v_fma_f64 v[32:33], v[32:33], 2.0, -v[36:37]
	v_fma_f64 v[34:35], v[34:35], 2.0, -v[38:39]
	ds_write_b128 v189, v[32:35]
	ds_write_b128 v189, v[36:39] offset:176
	ds_write_b128 v190, v[28:31]
	ds_write_b128 v190, v[40:43] offset:176
	;; [unrolled: 2-line block ×3, first 2 shown]
	buffer_load_dword v24, off, s[44:47], 0 offset:188 ; 4-byte Folded Reload
	v_fma_f64 v[0:1], v[0:1], 2.0, -v[60:61]
	v_fma_f64 v[2:3], v[2:3], 2.0, -v[62:63]
	s_waitcnt vmcnt(0)
	ds_write_b128 v24, v[20:23]
	ds_write_b128 v24, v[48:51] offset:176
	buffer_load_dword v20, off, s[44:47], 0 offset:192 ; 4-byte Folded Reload
	s_waitcnt vmcnt(0)
	ds_write_b128 v20, v[16:19]
	ds_write_b128 v20, v[52:55] offset:176
	buffer_load_dword v16, off, s[44:47], 0 offset:196 ; 4-byte Folded Reload
	;; [unrolled: 4-line block ×3, first 2 shown]
	s_waitcnt vmcnt(0)
	ds_write_b128 v12, v[0:3]
	ds_write_b128 v12, v[60:63] offset:176
	s_and_saveexec_b64 s[2:3], s[0:1]
	s_cbranch_execz .LBB0_21
; %bb.20:
	v_mul_f64 v[0:1], v[171:172], v[8:9]
	v_mul_f64 v[2:3], v[171:172], v[10:11]
	v_fma_f64 v[0:1], v[169:170], v[10:11], -v[0:1]
	v_fma_f64 v[8:9], v[169:170], v[8:9], v[2:3]
	v_add_f64 v[2:3], v[6:7], -v[0:1]
	v_add_f64 v[0:1], v[4:5], -v[8:9]
	v_mad_legacy_u16 v8, v123, 22, v168
	v_lshlrev_b32_e32 v8, 4, v8
	v_fma_f64 v[6:7], v[6:7], 2.0, -v[2:3]
	v_fma_f64 v[4:5], v[4:5], 2.0, -v[0:1]
	ds_write_b128 v8, v[4:7]
	ds_write_b128 v8, v[0:3] offset:176
.LBB0_21:
	s_or_b64 exec, exec, s[2:3]
	s_waitcnt lgkmcnt(0)
	s_barrier
	ds_read_b128 v[0:3], v66 offset:8800
	ds_read_b128 v[4:7], v66
	ds_read_b128 v[8:11], v66 offset:1760
	ds_read_b128 v[12:15], v66 offset:17600
	;; [unrolled: 1-line block ×6, first 2 shown]
	buffer_load_dword v56, off, s[44:47], 0 offset:220 ; 4-byte Folded Reload
	buffer_load_dword v57, off, s[44:47], 0 offset:224 ; 4-byte Folded Reload
	;; [unrolled: 1-line block ×4, first 2 shown]
	ds_read_b128 v[32:35], v66 offset:3520
	ds_read_b128 v[36:39], v66 offset:5280
	buffer_load_dword v67, off, s[44:47], 0 offset:204 ; 4-byte Folded Reload
	buffer_load_dword v68, off, s[44:47], 0 offset:208 ; 4-byte Folded Reload
	;; [unrolled: 1-line block ×4, first 2 shown]
	ds_read_b128 v[40:43], v66 offset:21120
	ds_read_b128 v[44:47], v66 offset:22880
	buffer_load_dword v73, off, s[44:47], 0 offset:284 ; 4-byte Folded Reload
	buffer_load_dword v74, off, s[44:47], 0 offset:288 ; 4-byte Folded Reload
	;; [unrolled: 1-line block ×4, first 2 shown]
	s_mov_b32 s0, 0xe8584caa
	s_mov_b32 s1, 0xbfebb67a
	;; [unrolled: 1-line block ×8, first 2 shown]
	s_waitcnt vmcnt(8) lgkmcnt(11)
	v_mul_f64 v[48:49], v[58:59], v[2:3]
	v_mul_f64 v[50:51], v[58:59], v[0:1]
	s_waitcnt vmcnt(4) lgkmcnt(8)
	v_mul_f64 v[52:53], v[69:70], v[14:15]
	v_mul_f64 v[54:55], v[69:70], v[12:13]
	buffer_load_dword v69, off, s[44:47], 0 offset:268 ; 4-byte Folded Reload
	buffer_load_dword v70, off, s[44:47], 0 offset:272 ; 4-byte Folded Reload
	;; [unrolled: 1-line block ×4, first 2 shown]
	s_waitcnt vmcnt(4) lgkmcnt(6)
	v_mul_f64 v[58:59], v[75:76], v[20:21]
	v_fma_f64 v[48:49], v[56:57], v[0:1], v[48:49]
	v_fma_f64 v[50:51], v[56:57], v[2:3], -v[50:51]
	v_fma_f64 v[52:53], v[67:68], v[12:13], v[52:53]
	v_fma_f64 v[54:55], v[67:68], v[14:15], -v[54:55]
	ds_read_b128 v[0:3], v66 offset:14080
	ds_read_b128 v[12:15], v66 offset:15840
	buffer_load_dword v79, off, s[44:47], 0 offset:316 ; 4-byte Folded Reload
	buffer_load_dword v80, off, s[44:47], 0 offset:320 ; 4-byte Folded Reload
	;; [unrolled: 1-line block ×4, first 2 shown]
	v_mul_f64 v[56:57], v[75:76], v[22:23]
	buffer_load_dword v75, off, s[44:47], 0 offset:300 ; 4-byte Folded Reload
	buffer_load_dword v76, off, s[44:47], 0 offset:304 ; 4-byte Folded Reload
	;; [unrolled: 1-line block ×4, first 2 shown]
	v_fma_f64 v[22:23], v[73:74], v[22:23], -v[58:59]
	v_fma_f64 v[20:21], v[73:74], v[20:21], v[56:57]
	s_waitcnt vmcnt(8)
	v_mul_f64 v[60:61], v[71:72], v[18:19]
	v_mul_f64 v[62:63], v[71:72], v[16:17]
	v_fma_f64 v[56:57], v[69:70], v[16:17], v[60:61]
	s_waitcnt vmcnt(4) lgkmcnt(7)
	v_mul_f64 v[58:59], v[81:82], v[26:27]
	v_mul_f64 v[60:61], v[81:82], v[24:25]
	buffer_load_dword v81, off, s[44:47], 0 offset:348 ; 4-byte Folded Reload
	buffer_load_dword v82, off, s[44:47], 0 offset:352 ; 4-byte Folded Reload
	;; [unrolled: 1-line block ×4, first 2 shown]
	v_fma_f64 v[62:63], v[69:70], v[18:19], -v[62:63]
	s_waitcnt vmcnt(4) lgkmcnt(3)
	v_mul_f64 v[67:68], v[77:78], v[42:43]
	v_mul_f64 v[69:70], v[77:78], v[40:41]
	ds_read_b128 v[16:19], v66 offset:24640
	v_fma_f64 v[24:25], v[79:80], v[24:25], v[58:59]
	v_fma_f64 v[26:27], v[79:80], v[26:27], -v[60:61]
	buffer_load_dword v77, off, s[44:47], 0 offset:332 ; 4-byte Folded Reload
	buffer_load_dword v78, off, s[44:47], 0 offset:336 ; 4-byte Folded Reload
	;; [unrolled: 1-line block ×4, first 2 shown]
	v_fma_f64 v[40:41], v[75:76], v[40:41], v[67:68]
	v_fma_f64 v[42:43], v[75:76], v[42:43], -v[69:70]
	v_add_f64 v[69:70], v[48:49], v[52:53]
	s_waitcnt vmcnt(4) lgkmcnt(2)
	v_mul_f64 v[71:72], v[83:84], v[2:3]
	v_mul_f64 v[73:74], v[83:84], v[0:1]
	buffer_load_dword v83, off, s[44:47], 0 offset:380 ; 4-byte Folded Reload
	buffer_load_dword v84, off, s[44:47], 0 offset:384 ; 4-byte Folded Reload
	;; [unrolled: 1-line block ×4, first 2 shown]
	s_waitcnt vmcnt(4)
	v_mul_f64 v[58:59], v[79:80], v[46:47]
	v_fma_f64 v[60:61], v[81:82], v[0:1], v[71:72]
	v_mul_f64 v[0:1], v[79:80], v[44:45]
	v_fma_f64 v[67:68], v[81:82], v[2:3], -v[73:74]
	buffer_load_dword v79, off, s[44:47], 0 offset:364 ; 4-byte Folded Reload
	buffer_load_dword v80, off, s[44:47], 0 offset:368 ; 4-byte Folded Reload
	;; [unrolled: 1-line block ×4, first 2 shown]
	s_waitcnt vmcnt(0) lgkmcnt(0)
	s_barrier
	v_fma_f64 v[58:59], v[77:78], v[44:45], v[58:59]
	v_fma_f64 v[46:47], v[77:78], v[46:47], -v[0:1]
	v_add_f64 v[0:1], v[4:5], v[48:49]
	v_add_f64 v[0:1], v[0:1], v[52:53]
	v_mul_f64 v[2:3], v[85:86], v[14:15]
	v_mul_f64 v[44:45], v[85:86], v[12:13]
	v_fma_f64 v[75:76], v[83:84], v[12:13], v[2:3]
	v_fma_f64 v[2:3], v[69:70], -0.5, v[4:5]
	v_mul_f64 v[71:72], v[81:82], v[18:19]
	v_mul_f64 v[73:74], v[81:82], v[16:17]
	v_add_f64 v[12:13], v[50:51], -v[54:55]
	v_fma_f64 v[69:70], v[83:84], v[14:15], -v[44:45]
	v_add_f64 v[14:15], v[50:51], v[54:55]
	v_add_f64 v[44:45], v[48:49], -v[52:53]
	v_add_f64 v[48:49], v[8:9], v[20:21]
	v_add_f64 v[52:53], v[20:21], -v[56:57]
	v_fma_f64 v[71:72], v[79:80], v[16:17], v[71:72]
	v_fma_f64 v[73:74], v[79:80], v[18:19], -v[73:74]
	v_add_f64 v[16:17], v[6:7], v[50:51]
	v_add_f64 v[18:19], v[20:21], v[56:57]
	v_fma_f64 v[4:5], v[12:13], s[0:1], v[2:3]
	v_fma_f64 v[12:13], v[12:13], s[2:3], v[2:3]
	v_add_f64 v[50:51], v[22:23], -v[62:63]
	v_fma_f64 v[14:15], v[14:15], -0.5, v[6:7]
	v_add_f64 v[2:3], v[16:17], v[54:55]
	v_add_f64 v[16:17], v[22:23], v[62:63]
	v_fma_f64 v[18:19], v[18:19], -0.5, v[8:9]
	v_add_f64 v[22:23], v[10:11], v[22:23]
	v_add_f64 v[8:9], v[48:49], v[56:57]
	v_fma_f64 v[6:7], v[44:45], s[2:3], v[14:15]
	v_fma_f64 v[14:15], v[44:45], s[0:1], v[14:15]
	v_add_f64 v[44:45], v[24:25], v[40:41]
	v_add_f64 v[54:55], v[32:33], v[24:25]
	v_fma_f64 v[48:49], v[16:17], -0.5, v[10:11]
	v_fma_f64 v[16:17], v[50:51], s[0:1], v[18:19]
	v_fma_f64 v[20:21], v[50:51], s[2:3], v[18:19]
	v_add_f64 v[50:51], v[26:27], v[42:43]
	v_add_f64 v[10:11], v[22:23], v[62:63]
	v_add_f64 v[56:57], v[26:27], -v[42:43]
	v_add_f64 v[62:63], v[60:61], v[58:59]
	v_add_f64 v[26:27], v[34:35], v[26:27]
	v_fma_f64 v[18:19], v[52:53], s[2:3], v[48:49]
	v_fma_f64 v[22:23], v[52:53], s[0:1], v[48:49]
	v_add_f64 v[52:53], v[36:37], v[60:61]
	v_fma_f64 v[48:49], v[50:51], -0.5, v[34:35]
	v_add_f64 v[50:51], v[24:25], -v[40:41]
	v_fma_f64 v[44:45], v[44:45], -0.5, v[32:33]
	v_add_f64 v[24:25], v[54:55], v[40:41]
	v_fma_f64 v[54:55], v[62:63], -0.5, v[36:37]
	v_add_f64 v[62:63], v[67:68], -v[46:47]
	v_add_f64 v[26:27], v[26:27], v[42:43]
	v_add_f64 v[36:37], v[52:53], v[58:59]
	v_add_f64 v[58:59], v[60:61], -v[58:59]
	v_fma_f64 v[34:35], v[50:51], s[2:3], v[48:49]
	v_fma_f64 v[42:43], v[50:51], s[0:1], v[48:49]
	v_add_f64 v[50:51], v[75:76], v[71:72]
	v_add_f64 v[60:61], v[28:29], v[75:76]
	v_fma_f64 v[32:33], v[56:57], s[0:1], v[44:45]
	v_fma_f64 v[40:41], v[56:57], s[2:3], v[44:45]
	v_fma_f64 v[44:45], v[62:63], s[0:1], v[54:55]
	v_fma_f64 v[48:49], v[62:63], s[2:3], v[54:55]
	v_add_f64 v[56:57], v[67:68], v[46:47]
	v_add_f64 v[54:55], v[38:39], v[67:68]
	v_fma_f64 v[62:63], v[50:51], -0.5, v[28:29]
	v_add_f64 v[28:29], v[60:61], v[71:72]
	buffer_load_dword v60, off, s[44:47], 0 offset:396 ; 4-byte Folded Reload
	v_add_f64 v[52:53], v[69:70], v[73:74]
	v_add_f64 v[67:68], v[69:70], -v[73:74]
	v_add_f64 v[69:70], v[30:31], v[69:70]
	v_fma_f64 v[56:57], v[56:57], -0.5, v[38:39]
	v_add_f64 v[38:39], v[54:55], v[46:47]
	v_add_f64 v[75:76], v[75:76], -v[71:72]
	s_waitcnt vmcnt(0)
	ds_write_b128 v60, v[0:3]
	ds_write_b128 v60, v[4:7] offset:352
	ds_write_b128 v60, v[12:15] offset:704
	buffer_load_dword v0, off, s[44:47], 0 offset:400 ; 4-byte Folded Reload
	v_fma_f64 v[46:47], v[58:59], s[2:3], v[56:57]
	v_fma_f64 v[50:51], v[58:59], s[0:1], v[56:57]
	v_fma_f64 v[77:78], v[52:53], -0.5, v[30:31]
	v_add_f64 v[30:31], v[69:70], v[73:74]
	v_fma_f64 v[52:53], v[67:68], s[0:1], v[62:63]
	v_fma_f64 v[56:57], v[67:68], s[2:3], v[62:63]
	s_waitcnt vmcnt(0)
	ds_write_b128 v0, v[8:11]
	ds_write_b128 v0, v[16:19] offset:352
	ds_write_b128 v0, v[20:23] offset:704
	buffer_load_dword v0, off, s[44:47], 0 offset:404 ; 4-byte Folded Reload
	v_fma_f64 v[54:55], v[75:76], s[2:3], v[77:78]
	v_fma_f64 v[58:59], v[75:76], s[0:1], v[77:78]
	s_mov_b32 s0, 0x134454ff
	s_mov_b32 s1, 0xbfee6f0e
	;; [unrolled: 1-line block ×6, first 2 shown]
	s_waitcnt vmcnt(0)
	ds_write_b128 v0, v[24:27]
	ds_write_b128 v0, v[32:35] offset:352
	ds_write_b128 v0, v[40:43] offset:704
	buffer_load_dword v0, off, s[44:47], 0 offset:408 ; 4-byte Folded Reload
	s_waitcnt vmcnt(0)
	ds_write_b128 v0, v[36:39]
	ds_write_b128 v0, v[44:47] offset:352
	ds_write_b128 v0, v[48:51] offset:704
	buffer_load_dword v0, off, s[44:47], 0 offset:412 ; 4-byte Folded Reload
	s_waitcnt vmcnt(0)
	ds_write_b128 v0, v[28:31]
	ds_write_b128 v0, v[52:55] offset:352
	ds_write_b128 v0, v[56:59] offset:704
	s_waitcnt lgkmcnt(0)
	s_barrier
	ds_read_b128 v[0:3], v66
	ds_read_b128 v[4:7], v66 offset:1760
	ds_read_b128 v[8:11], v66 offset:10560
	;; [unrolled: 1-line block ×11, first 2 shown]
	buffer_load_dword v89, off, s[44:47], 0 offset:464 ; 4-byte Folded Reload
	buffer_load_dword v90, off, s[44:47], 0 offset:468 ; 4-byte Folded Reload
	buffer_load_dword v91, off, s[44:47], 0 offset:472 ; 4-byte Folded Reload
	buffer_load_dword v92, off, s[44:47], 0 offset:476 ; 4-byte Folded Reload
	ds_read_b128 v[48:51], v66 offset:17600
	ds_read_b128 v[52:55], v66 offset:19360
	ds_read_b128 v[56:59], v66 offset:24640
	buffer_load_dword v85, off, s[44:47], 0 offset:448 ; 4-byte Folded Reload
	buffer_load_dword v86, off, s[44:47], 0 offset:452 ; 4-byte Folded Reload
	;; [unrolled: 1-line block ×12, first 2 shown]
	s_waitcnt vmcnt(12) lgkmcnt(8)
	v_mul_f64 v[60:61], v[91:92], v[26:27]
	v_mul_f64 v[62:63], v[91:92], v[24:25]
	s_waitcnt vmcnt(8)
	v_mul_f64 v[67:68], v[87:88], v[10:11]
	v_mul_f64 v[69:70], v[87:88], v[8:9]
	s_waitcnt vmcnt(4) lgkmcnt(4)
	v_mul_f64 v[71:72], v[83:84], v[42:43]
	v_mul_f64 v[73:74], v[83:84], v[40:41]
	s_waitcnt vmcnt(0)
	v_mul_f64 v[75:76], v[79:80], v[16:17]
	v_fma_f64 v[24:25], v[89:90], v[24:25], v[60:61]
	v_mul_f64 v[60:61], v[79:80], v[18:19]
	v_fma_f64 v[26:27], v[89:90], v[26:27], -v[62:63]
	v_fma_f64 v[62:63], v[85:86], v[8:9], v[67:68]
	v_fma_f64 v[67:68], v[85:86], v[10:11], -v[69:70]
	v_fma_f64 v[10:11], v[81:82], v[40:41], v[71:72]
	v_fma_f64 v[40:41], v[81:82], v[42:43], -v[73:74]
	buffer_load_dword v89, off, s[44:47], 0 offset:544 ; 4-byte Folded Reload
	buffer_load_dword v90, off, s[44:47], 0 offset:548 ; 4-byte Folded Reload
	;; [unrolled: 1-line block ×12, first 2 shown]
	v_fma_f64 v[16:17], v[77:78], v[16:17], v[60:61]
	v_fma_f64 v[18:19], v[77:78], v[18:19], -v[75:76]
	buffer_load_dword v77, off, s[44:47], 0 offset:480 ; 4-byte Folded Reload
	buffer_load_dword v78, off, s[44:47], 0 offset:484 ; 4-byte Folded Reload
	;; [unrolled: 1-line block ×4, first 2 shown]
	s_waitcnt vmcnt(12)
	v_mul_f64 v[8:9], v[91:92], v[34:35]
	v_mul_f64 v[42:43], v[91:92], v[32:33]
	s_waitcnt vmcnt(4) lgkmcnt(2)
	v_mul_f64 v[71:72], v[83:84], v[50:51]
	v_mul_f64 v[73:74], v[83:84], v[48:49]
	;; [unrolled: 1-line block ×3, first 2 shown]
	s_waitcnt vmcnt(0)
	v_mul_f64 v[75:76], v[79:80], v[20:21]
	v_mul_f64 v[69:70], v[87:88], v[12:13]
	v_fma_f64 v[32:33], v[89:90], v[32:33], v[8:9]
	v_mul_f64 v[8:9], v[79:80], v[22:23]
	v_fma_f64 v[48:49], v[81:82], v[48:49], v[71:72]
	v_fma_f64 v[50:51], v[81:82], v[50:51], -v[73:74]
	buffer_load_dword v79, off, s[44:47], 0 offset:592 ; 4-byte Folded Reload
	buffer_load_dword v80, off, s[44:47], 0 offset:596 ; 4-byte Folded Reload
	buffer_load_dword v81, off, s[44:47], 0 offset:600 ; 4-byte Folded Reload
	buffer_load_dword v82, off, s[44:47], 0 offset:604 ; 4-byte Folded Reload
	v_fma_f64 v[34:35], v[89:90], v[34:35], -v[42:43]
	v_fma_f64 v[42:43], v[85:86], v[12:13], v[60:61]
	v_fma_f64 v[60:61], v[85:86], v[14:15], -v[69:70]
	buffer_load_dword v85, off, s[44:47], 0 offset:576 ; 4-byte Folded Reload
	buffer_load_dword v86, off, s[44:47], 0 offset:580 ; 4-byte Folded Reload
	buffer_load_dword v87, off, s[44:47], 0 offset:584 ; 4-byte Folded Reload
	buffer_load_dword v88, off, s[44:47], 0 offset:588 ; 4-byte Folded Reload
	v_fma_f64 v[69:70], v[77:78], v[20:21], v[8:9]
	v_fma_f64 v[71:72], v[77:78], v[22:23], -v[75:76]
	v_add_f64 v[20:21], v[0:1], v[24:25]
	v_add_f64 v[73:74], v[62:63], v[10:11]
	s_waitcnt vmcnt(4)
	v_mul_f64 v[12:13], v[81:82], v[38:39]
	v_mul_f64 v[8:9], v[81:82], v[36:37]
	buffer_load_dword v81, off, s[44:47], 0 offset:560 ; 4-byte Folded Reload
	buffer_load_dword v82, off, s[44:47], 0 offset:564 ; 4-byte Folded Reload
	;; [unrolled: 1-line block ×4, first 2 shown]
	s_waitcnt vmcnt(4)
	v_mul_f64 v[14:15], v[87:88], v[46:47]
	v_mul_f64 v[22:23], v[87:88], v[44:45]
	v_fma_f64 v[75:76], v[79:80], v[36:37], v[12:13]
	v_fma_f64 v[77:78], v[79:80], v[38:39], -v[8:9]
	v_add_f64 v[8:9], v[20:21], v[62:63]
	v_add_f64 v[20:21], v[26:27], -v[18:19]
	v_fma_f64 v[79:80], v[85:86], v[44:45], v[14:15]
	v_fma_f64 v[46:47], v[85:86], v[46:47], -v[22:23]
	v_fma_f64 v[14:15], v[73:74], -0.5, v[0:1]
	v_add_f64 v[38:39], v[67:68], -v[40:41]
	v_add_f64 v[44:45], v[24:25], v[16:17]
	v_add_f64 v[73:74], v[24:25], -v[62:63]
	v_add_f64 v[8:9], v[8:9], v[10:11]
	v_fma_f64 v[0:1], v[44:45], -0.5, v[0:1]
	v_add_f64 v[44:45], v[67:68], v[40:41]
	v_add_f64 v[8:9], v[8:9], v[16:17]
	v_fma_f64 v[44:45], v[44:45], -0.5, v[2:3]
	s_waitcnt vmcnt(0) lgkmcnt(1)
	v_mul_f64 v[12:13], v[83:84], v[54:55]
	v_mul_f64 v[36:37], v[83:84], v[52:53]
	buffer_load_dword v83, off, s[44:47], 0 offset:528 ; 4-byte Folded Reload
	buffer_load_dword v84, off, s[44:47], 0 offset:532 ; 4-byte Folded Reload
	;; [unrolled: 1-line block ×4, first 2 shown]
	s_waitcnt vmcnt(0) lgkmcnt(0)
	s_barrier
	v_fma_f64 v[52:53], v[81:82], v[52:53], v[12:13]
	v_fma_f64 v[54:55], v[81:82], v[54:55], -v[36:37]
	v_fma_f64 v[36:37], v[20:21], s[0:1], v[14:15]
	v_add_f64 v[81:82], v[16:17], -v[10:11]
	v_fma_f64 v[14:15], v[20:21], s[4:5], v[14:15]
	v_fma_f64 v[14:15], v[38:39], s[12:13], v[14:15]
	v_mul_f64 v[12:13], v[85:86], v[58:59]
	v_mul_f64 v[22:23], v[85:86], v[56:57]
	v_add_f64 v[85:86], v[48:49], -v[69:70]
	v_fma_f64 v[56:57], v[83:84], v[56:57], v[12:13]
	v_fma_f64 v[12:13], v[38:39], s[2:3], v[36:37]
	v_add_f64 v[36:37], v[2:3], v[26:27]
	v_fma_f64 v[58:59], v[83:84], v[58:59], -v[22:23]
	v_add_f64 v[22:23], v[73:74], v[81:82]
	v_fma_f64 v[73:74], v[38:39], s[4:5], v[0:1]
	v_add_f64 v[81:82], v[62:63], -v[24:25]
	v_add_f64 v[83:84], v[10:11], -v[16:17]
	v_fma_f64 v[0:1], v[38:39], s[0:1], v[0:1]
	v_add_f64 v[24:25], v[24:25], -v[16:17]
	v_add_f64 v[36:37], v[36:37], v[67:68]
	v_add_f64 v[62:63], v[62:63], -v[10:11]
	v_fma_f64 v[16:17], v[20:21], s[2:3], v[73:74]
	v_add_f64 v[38:39], v[81:82], v[83:84]
	v_fma_f64 v[20:21], v[20:21], s[12:13], v[0:1]
	v_add_f64 v[81:82], v[26:27], v[18:19]
	v_add_f64 v[36:37], v[36:37], v[40:41]
	v_fma_f64 v[73:74], v[24:25], s[4:5], v[44:45]
	v_fma_f64 v[0:1], v[22:23], s[14:15], v[12:13]
	;; [unrolled: 1-line block ×3, first 2 shown]
	v_add_f64 v[22:23], v[26:27], -v[67:68]
	v_fma_f64 v[16:17], v[38:39], s[14:15], v[16:17]
	v_fma_f64 v[20:21], v[38:39], s[14:15], v[20:21]
	v_fma_f64 v[2:3], v[81:82], -0.5, v[2:3]
	v_add_f64 v[10:11], v[36:37], v[18:19]
	v_add_f64 v[36:37], v[18:19], -v[40:41]
	v_add_f64 v[38:39], v[4:5], v[32:33]
	v_fma_f64 v[14:15], v[62:63], s[12:13], v[73:74]
	v_fma_f64 v[44:45], v[24:25], s[0:1], v[44:45]
	v_add_f64 v[73:74], v[42:43], v[48:49]
	v_add_f64 v[26:27], v[67:68], -v[26:27]
	v_fma_f64 v[81:82], v[62:63], s[0:1], v[2:3]
	v_add_f64 v[18:19], v[40:41], -v[18:19]
	v_fma_f64 v[2:3], v[62:63], s[4:5], v[2:3]
	v_add_f64 v[22:23], v[22:23], v[36:37]
	v_add_f64 v[36:37], v[38:39], v[42:43]
	v_fma_f64 v[38:39], v[62:63], s[2:3], v[44:45]
	v_fma_f64 v[40:41], v[73:74], -0.5, v[4:5]
	v_add_f64 v[44:45], v[34:35], -v[71:72]
	v_fma_f64 v[62:63], v[24:25], s[12:13], v[81:82]
	v_add_f64 v[26:27], v[26:27], v[18:19]
	v_fma_f64 v[24:25], v[24:25], s[2:3], v[2:3]
	v_add_f64 v[67:68], v[32:33], v[69:70]
	v_add_f64 v[36:37], v[36:37], v[48:49]
	v_fma_f64 v[2:3], v[22:23], s[14:15], v[14:15]
	v_fma_f64 v[14:15], v[22:23], s[14:15], v[38:39]
	;; [unrolled: 1-line block ×3, first 2 shown]
	v_add_f64 v[73:74], v[60:61], -v[50:51]
	v_fma_f64 v[18:19], v[26:27], s[14:15], v[62:63]
	v_fma_f64 v[22:23], v[26:27], s[14:15], v[24:25]
	v_fma_f64 v[24:25], v[67:68], -0.5, v[4:5]
	v_add_f64 v[4:5], v[36:37], v[69:70]
	v_add_f64 v[26:27], v[32:33], -v[42:43]
	v_add_f64 v[36:37], v[69:70], -v[48:49]
	v_fma_f64 v[40:41], v[44:45], s[4:5], v[40:41]
	v_fma_f64 v[38:39], v[73:74], s[2:3], v[38:39]
	v_add_f64 v[83:84], v[42:43], -v[32:33]
	v_add_f64 v[62:63], v[6:7], v[34:35]
	v_fma_f64 v[81:82], v[73:74], s[4:5], v[24:25]
	v_add_f64 v[67:68], v[60:61], v[50:51]
	v_add_f64 v[69:70], v[32:33], -v[69:70]
	v_add_f64 v[26:27], v[26:27], v[36:37]
	v_fma_f64 v[36:37], v[73:74], s[12:13], v[40:41]
	v_fma_f64 v[40:41], v[73:74], s[0:1], v[24:25]
	v_add_f64 v[42:43], v[42:43], -v[48:49]
	v_add_f64 v[62:63], v[62:63], v[60:61]
	v_fma_f64 v[73:74], v[44:45], s[2:3], v[81:82]
	v_add_f64 v[81:82], v[83:84], v[85:86]
	v_fma_f64 v[67:68], v[67:68], -0.5, v[6:7]
	v_fma_f64 v[24:25], v[26:27], s[14:15], v[38:39]
	v_fma_f64 v[32:33], v[26:27], s[14:15], v[36:37]
	;; [unrolled: 1-line block ×3, first 2 shown]
	v_add_f64 v[44:45], v[34:35], v[71:72]
	v_add_f64 v[38:39], v[62:63], v[50:51]
	;; [unrolled: 1-line block ×3, first 2 shown]
	v_fma_f64 v[36:37], v[81:82], s[14:15], v[73:74]
	v_fma_f64 v[62:63], v[69:70], s[4:5], v[67:68]
	v_add_f64 v[73:74], v[34:35], -v[60:61]
	v_add_f64 v[83:84], v[71:72], -v[50:51]
	v_fma_f64 v[40:41], v[81:82], s[14:15], v[26:27]
	v_fma_f64 v[26:27], v[44:45], -0.5, v[6:7]
	v_add_f64 v[44:45], v[28:29], v[75:76]
	v_fma_f64 v[67:68], v[69:70], s[0:1], v[67:68]
	v_add_f64 v[34:35], v[60:61], -v[34:35]
	v_add_f64 v[50:51], v[50:51], -v[71:72]
	v_add_f64 v[6:7], v[38:39], v[71:72]
	v_fma_f64 v[38:39], v[42:43], s[12:13], v[62:63]
	v_fma_f64 v[48:49], v[48:49], -0.5, v[28:29]
	v_fma_f64 v[81:82], v[42:43], s[0:1], v[26:27]
	v_fma_f64 v[26:27], v[42:43], s[4:5], v[26:27]
	v_add_f64 v[62:63], v[77:78], -v[58:59]
	v_add_f64 v[73:74], v[73:74], v[83:84]
	v_add_f64 v[44:45], v[44:45], v[79:80]
	v_fma_f64 v[42:43], v[42:43], s[2:3], v[67:68]
	v_add_f64 v[50:51], v[34:35], v[50:51]
	v_add_f64 v[71:72], v[46:47], -v[54:55]
	v_fma_f64 v[81:82], v[69:70], s[12:13], v[81:82]
	v_fma_f64 v[69:70], v[69:70], s[2:3], v[26:27]
	;; [unrolled: 1-line block ×3, first 2 shown]
	v_add_f64 v[83:84], v[75:76], -v[79:80]
	v_add_f64 v[85:86], v[56:57], -v[52:53]
	v_add_f64 v[67:68], v[75:76], v[56:57]
	v_add_f64 v[44:45], v[44:45], v[52:53]
	v_fma_f64 v[26:27], v[73:74], s[14:15], v[38:39]
	v_fma_f64 v[34:35], v[73:74], s[14:15], v[42:43]
	;; [unrolled: 1-line block ×4, first 2 shown]
	v_add_f64 v[50:51], v[46:47], v[54:55]
	v_add_f64 v[73:74], v[77:78], v[58:59]
	v_fma_f64 v[60:61], v[71:72], s[2:3], v[60:61]
	v_add_f64 v[83:84], v[83:84], v[85:86]
	v_fma_f64 v[67:68], v[67:68], -0.5, v[28:29]
	v_add_f64 v[28:29], v[44:45], v[56:57]
	v_fma_f64 v[48:49], v[62:63], s[4:5], v[48:49]
	v_add_f64 v[69:70], v[79:80], -v[75:76]
	v_add_f64 v[81:82], v[52:53], -v[56:57]
	v_add_f64 v[85:86], v[30:31], v[77:78]
	v_fma_f64 v[50:51], v[50:51], -0.5, v[30:31]
	v_add_f64 v[56:57], v[75:76], -v[56:57]
	v_add_f64 v[52:53], v[79:80], -v[52:53]
	v_fma_f64 v[30:31], v[73:74], -0.5, v[30:31]
	v_fma_f64 v[44:45], v[83:84], s[14:15], v[60:61]
	v_fma_f64 v[60:61], v[71:72], s[4:5], v[67:68]
	;; [unrolled: 1-line block ×3, first 2 shown]
	v_add_f64 v[69:70], v[69:70], v[81:82]
	v_fma_f64 v[67:68], v[71:72], s[0:1], v[67:68]
	v_add_f64 v[71:72], v[85:86], v[46:47]
	v_fma_f64 v[73:74], v[56:57], s[4:5], v[50:51]
	v_add_f64 v[75:76], v[77:78], -v[46:47]
	v_add_f64 v[79:80], v[58:59], -v[54:55]
	v_fma_f64 v[50:51], v[56:57], s[0:1], v[50:51]
	v_fma_f64 v[81:82], v[52:53], s[0:1], v[30:31]
	v_add_f64 v[46:47], v[46:47], -v[77:78]
	v_add_f64 v[77:78], v[54:55], -v[58:59]
	v_fma_f64 v[30:31], v[52:53], s[4:5], v[30:31]
	v_fma_f64 v[60:61], v[62:63], s[2:3], v[60:61]
	;; [unrolled: 1-line block ×3, first 2 shown]
	v_add_f64 v[54:55], v[71:72], v[54:55]
	v_fma_f64 v[67:68], v[52:53], s[12:13], v[73:74]
	v_add_f64 v[71:72], v[75:76], v[79:80]
	v_fma_f64 v[50:51], v[52:53], s[2:3], v[50:51]
	v_fma_f64 v[73:74], v[56:57], s[12:13], v[81:82]
	v_add_f64 v[75:76], v[46:47], v[77:78]
	v_fma_f64 v[77:78], v[56:57], s[2:3], v[30:31]
	v_fma_f64 v[48:49], v[83:84], s[14:15], v[48:49]
	;; [unrolled: 1-line block ×4, first 2 shown]
	v_add_f64 v[30:31], v[54:55], v[58:59]
	v_fma_f64 v[46:47], v[71:72], s[14:15], v[67:68]
	v_fma_f64 v[50:51], v[71:72], s[14:15], v[50:51]
	;; [unrolled: 1-line block ×4, first 2 shown]
	ds_write_b128 v192, v[8:11]
	ds_write_b128 v192, v[0:3] offset:1056
	ds_write_b128 v192, v[16:19] offset:2112
	ds_write_b128 v192, v[20:23] offset:3168
	ds_write_b128 v192, v[12:15] offset:4224
	ds_write_b128 v193, v[4:7]
	ds_write_b128 v193, v[24:27] offset:1056
	ds_write_b128 v193, v[36:39] offset:2112
	ds_write_b128 v193, v[40:43] offset:3168
	ds_write_b128 v193, v[32:35] offset:4224
	;; [unrolled: 5-line block ×3, first 2 shown]
	s_waitcnt lgkmcnt(0)
	s_barrier
	ds_read_b128 v[0:3], v66 offset:5280
	ds_read_b128 v[4:7], v66
	ds_read_b128 v[8:11], v66 offset:1760
	ds_read_b128 v[12:15], v66 offset:10560
	;; [unrolled: 1-line block ×13, first 2 shown]
	buffer_load_dword v77, off, s[44:47], 0 offset:624 ; 4-byte Folded Reload
	buffer_load_dword v78, off, s[44:47], 0 offset:628 ; 4-byte Folded Reload
	buffer_load_dword v79, off, s[44:47], 0 offset:632 ; 4-byte Folded Reload
	buffer_load_dword v80, off, s[44:47], 0 offset:636 ; 4-byte Folded Reload
	buffer_load_dword v81, off, s[44:47], 0 offset:640 ; 4-byte Folded Reload
	buffer_load_dword v82, off, s[44:47], 0 offset:644 ; 4-byte Folded Reload
	buffer_load_dword v83, off, s[44:47], 0 offset:648 ; 4-byte Folded Reload
	buffer_load_dword v84, off, s[44:47], 0 offset:652 ; 4-byte Folded Reload
	s_waitcnt lgkmcnt(14)
	v_mul_f64 v[60:61], v[210:211], v[2:3]
	v_mul_f64 v[62:63], v[210:211], v[0:1]
	s_waitcnt lgkmcnt(11)
	v_mul_f64 v[67:68], v[217:218], v[14:15]
	v_mul_f64 v[69:70], v[217:218], v[12:13]
	v_fma_f64 v[0:1], v[208:209], v[0:1], v[60:61]
	v_fma_f64 v[60:61], v[208:209], v[2:3], -v[62:63]
	v_fma_f64 v[2:3], v[215:216], v[12:13], v[67:68]
	s_waitcnt lgkmcnt(4)
	v_mul_f64 v[12:13], v[201:202], v[42:43]
	v_mul_f64 v[62:63], v[201:202], v[40:41]
	v_fma_f64 v[14:15], v[215:216], v[14:15], -v[69:70]
	v_mul_f64 v[67:68], v[197:198], v[22:23]
	v_mul_f64 v[69:70], v[197:198], v[20:21]
	v_fma_f64 v[12:13], v[199:200], v[40:41], v[12:13]
	v_fma_f64 v[42:43], v[199:200], v[42:43], -v[62:63]
	v_fma_f64 v[20:21], v[195:196], v[20:21], v[67:68]
	v_fma_f64 v[22:23], v[195:196], v[22:23], -v[69:70]
	v_mul_f64 v[69:70], v[221:222], v[24:25]
	v_add_f64 v[85:86], v[12:13], -v[20:21]
	v_add_f64 v[87:88], v[0:1], -v[20:21]
	s_waitcnt vmcnt(4)
	v_mul_f64 v[71:72], v[79:80], v[34:35]
	v_mul_f64 v[73:74], v[79:80], v[32:33]
	s_waitcnt vmcnt(0)
	v_mul_f64 v[75:76], v[83:84], v[18:19]
	v_mul_f64 v[40:41], v[83:84], v[16:17]
	v_add_f64 v[83:84], v[14:15], -v[42:43]
	v_fma_f64 v[32:33], v[77:78], v[32:33], v[71:72]
	v_fma_f64 v[34:35], v[77:78], v[34:35], -v[73:74]
	buffer_load_dword v77, off, s[44:47], 0 offset:608 ; 4-byte Folded Reload
	buffer_load_dword v78, off, s[44:47], 0 offset:612 ; 4-byte Folded Reload
	;; [unrolled: 1-line block ×4, first 2 shown]
	v_fma_f64 v[62:63], v[81:82], v[16:17], v[75:76]
	v_fma_f64 v[67:68], v[81:82], v[18:19], -v[40:41]
	v_mul_f64 v[71:72], v[237:238], v[38:39]
	v_mul_f64 v[40:41], v[221:222], v[26:27]
	;; [unrolled: 1-line block ×3, first 2 shown]
	s_waitcnt lgkmcnt(3)
	v_mul_f64 v[75:76], v[233:234], v[46:47]
	v_fma_f64 v[26:27], v[219:220], v[26:27], -v[69:70]
	v_fma_f64 v[69:70], v[235:236], v[36:37], v[71:72]
	v_add_f64 v[36:37], v[60:61], -v[22:23]
	v_fma_f64 v[24:25], v[219:220], v[24:25], v[40:41]
	v_fma_f64 v[71:72], v[235:236], v[38:39], -v[73:74]
	v_fma_f64 v[73:74], v[231:232], v[44:45], v[75:76]
	v_mul_f64 v[38:39], v[233:234], v[44:45]
	s_waitcnt lgkmcnt(1)
	v_mul_f64 v[40:41], v[229:230], v[54:55]
	v_mul_f64 v[44:45], v[229:230], v[52:53]
	s_waitcnt lgkmcnt(0)
	v_mul_f64 v[75:76], v[225:226], v[58:59]
	v_fma_f64 v[46:47], v[231:232], v[46:47], -v[38:39]
	v_fma_f64 v[52:53], v[227:228], v[52:53], v[40:41]
	v_fma_f64 v[54:55], v[227:228], v[54:55], -v[44:45]
	v_add_f64 v[40:41], v[0:1], -v[2:3]
	v_add_f64 v[44:45], v[6:7], v[60:61]
	v_add_f64 v[44:45], v[44:45], v[14:15]
	;; [unrolled: 1-line block ×3, first 2 shown]
	s_waitcnt vmcnt(0)
	v_mul_f64 v[16:17], v[79:80], v[50:51]
	v_mul_f64 v[18:19], v[79:80], v[48:49]
	v_add_f64 v[79:80], v[0:1], v[20:21]
	v_fma_f64 v[48:49], v[77:78], v[48:49], v[16:17]
	v_add_f64 v[16:17], v[2:3], v[12:13]
	v_fma_f64 v[50:51], v[77:78], v[50:51], -v[18:19]
	v_add_f64 v[18:19], v[4:5], v[0:1]
	v_mul_f64 v[77:78], v[225:226], v[56:57]
	v_fma_f64 v[56:57], v[223:224], v[56:57], v[75:76]
	v_add_f64 v[75:76], v[14:15], v[42:43]
	v_fma_f64 v[16:17], v[16:17], -0.5, v[4:5]
	v_fma_f64 v[4:5], v[79:80], -0.5, v[4:5]
	v_add_f64 v[18:19], v[18:19], v[2:3]
	v_fma_f64 v[58:59], v[223:224], v[58:59], -v[77:78]
	v_add_f64 v[77:78], v[20:21], -v[12:13]
	v_fma_f64 v[75:76], v[75:76], -0.5, v[6:7]
	v_fma_f64 v[81:82], v[36:37], s[0:1], v[16:17]
	v_fma_f64 v[16:17], v[36:37], s[4:5], v[16:17]
	;; [unrolled: 1-line block ×4, first 2 shown]
	v_add_f64 v[18:19], v[18:19], v[12:13]
	v_add_f64 v[40:41], v[40:41], v[77:78]
	v_fma_f64 v[38:39], v[83:84], s[2:3], v[81:82]
	v_add_f64 v[81:82], v[2:3], -v[0:1]
	v_fma_f64 v[16:17], v[83:84], s[12:13], v[16:17]
	v_fma_f64 v[77:78], v[36:37], s[2:3], v[79:80]
	;; [unrolled: 1-line block ×3, first 2 shown]
	v_add_f64 v[0:1], v[18:19], v[20:21]
	v_fma_f64 v[83:84], v[87:88], s[4:5], v[75:76]
	v_fma_f64 v[4:5], v[40:41], s[14:15], v[38:39]
	v_add_f64 v[79:80], v[81:82], v[85:86]
	v_add_f64 v[81:82], v[60:61], v[22:23]
	v_add_f64 v[85:86], v[2:3], -v[12:13]
	v_fma_f64 v[12:13], v[40:41], s[14:15], v[16:17]
	v_add_f64 v[38:39], v[22:23], -v[42:43]
	v_add_f64 v[40:41], v[8:9], v[32:33]
	v_add_f64 v[2:3], v[44:45], v[22:23]
	v_fma_f64 v[44:45], v[87:88], s[0:1], v[75:76]
	v_fma_f64 v[20:21], v[79:80], s[14:15], v[36:37]
	v_fma_f64 v[6:7], v[81:82], -0.5, v[6:7]
	v_add_f64 v[36:37], v[60:61], -v[14:15]
	v_fma_f64 v[16:17], v[79:80], s[14:15], v[77:78]
	v_add_f64 v[75:76], v[62:63], v[48:49]
	v_add_f64 v[14:15], v[14:15], -v[60:61]
	v_add_f64 v[22:23], v[42:43], -v[22:23]
	v_fma_f64 v[18:19], v[85:86], s[12:13], v[83:84]
	v_add_f64 v[79:80], v[67:68], v[50:51]
	v_fma_f64 v[77:78], v[85:86], s[0:1], v[6:7]
	v_fma_f64 v[6:7], v[85:86], s[4:5], v[6:7]
	v_add_f64 v[36:37], v[36:37], v[38:39]
	v_add_f64 v[38:39], v[40:41], v[62:63]
	v_fma_f64 v[40:41], v[85:86], s[2:3], v[44:45]
	v_fma_f64 v[42:43], v[75:76], -0.5, v[8:9]
	v_add_f64 v[44:45], v[34:35], -v[26:27]
	v_add_f64 v[22:23], v[14:15], v[22:23]
	v_fma_f64 v[60:61], v[87:88], s[12:13], v[77:78]
	v_fma_f64 v[75:76], v[87:88], s[2:3], v[6:7]
	v_add_f64 v[77:78], v[32:33], v[24:25]
	v_add_f64 v[38:39], v[38:39], v[48:49]
	v_fma_f64 v[6:7], v[36:37], s[14:15], v[18:19]
	v_fma_f64 v[14:15], v[36:37], s[14:15], v[40:41]
	;; [unrolled: 1-line block ×3, first 2 shown]
	v_add_f64 v[40:41], v[67:68], -v[50:51]
	v_fma_f64 v[18:19], v[22:23], s[14:15], v[60:61]
	v_fma_f64 v[22:23], v[22:23], s[14:15], v[75:76]
	v_fma_f64 v[60:61], v[77:78], -0.5, v[8:9]
	v_add_f64 v[8:9], v[38:39], v[24:25]
	v_add_f64 v[38:39], v[32:33], -v[62:63]
	v_add_f64 v[75:76], v[24:25], -v[48:49]
	v_fma_f64 v[42:43], v[44:45], s[4:5], v[42:43]
	v_add_f64 v[77:78], v[10:11], v[34:35]
	v_fma_f64 v[36:37], v[40:41], s[2:3], v[36:37]
	v_add_f64 v[83:84], v[62:63], -v[32:33]
	v_fma_f64 v[81:82], v[40:41], s[4:5], v[60:61]
	v_add_f64 v[85:86], v[48:49], -v[24:25]
	v_add_f64 v[48:49], v[62:63], -v[48:49]
	v_add_f64 v[38:39], v[38:39], v[75:76]
	v_fma_f64 v[42:43], v[40:41], s[12:13], v[42:43]
	v_fma_f64 v[40:41], v[40:41], s[0:1], v[60:61]
	v_add_f64 v[60:61], v[77:78], v[67:68]
	v_fma_f64 v[75:76], v[79:80], -0.5, v[10:11]
	v_add_f64 v[77:78], v[32:33], -v[24:25]
	v_fma_f64 v[79:80], v[44:45], s[2:3], v[81:82]
	v_add_f64 v[81:82], v[83:84], v[85:86]
	v_fma_f64 v[24:25], v[38:39], s[14:15], v[36:37]
	v_fma_f64 v[32:33], v[38:39], s[14:15], v[42:43]
	;; [unrolled: 1-line block ×3, first 2 shown]
	v_add_f64 v[42:43], v[60:61], v[50:51]
	v_add_f64 v[44:45], v[34:35], v[26:27]
	v_fma_f64 v[60:61], v[77:78], s[4:5], v[75:76]
	v_add_f64 v[62:63], v[73:74], v[52:53]
	v_fma_f64 v[36:37], v[81:82], s[14:15], v[79:80]
	v_add_f64 v[79:80], v[34:35], -v[67:68]
	v_add_f64 v[83:84], v[26:27], -v[50:51]
	v_fma_f64 v[40:41], v[81:82], s[14:15], v[38:39]
	v_fma_f64 v[75:76], v[77:78], s[0:1], v[75:76]
	v_fma_f64 v[38:39], v[44:45], -0.5, v[10:11]
	v_add_f64 v[10:11], v[42:43], v[26:27]
	v_fma_f64 v[42:43], v[48:49], s[12:13], v[60:61]
	v_add_f64 v[44:45], v[28:29], v[69:70]
	v_fma_f64 v[60:61], v[62:63], -0.5, v[28:29]
	v_add_f64 v[62:63], v[71:72], -v[58:59]
	v_add_f64 v[79:80], v[79:80], v[83:84]
	v_add_f64 v[34:35], v[67:68], -v[34:35]
	v_fma_f64 v[81:82], v[48:49], s[0:1], v[38:39]
	v_add_f64 v[26:27], v[50:51], -v[26:27]
	v_fma_f64 v[38:39], v[48:49], s[4:5], v[38:39]
	v_add_f64 v[44:45], v[44:45], v[73:74]
	v_add_f64 v[67:68], v[46:47], -v[54:55]
	v_fma_f64 v[50:51], v[62:63], s[0:1], v[60:61]
	v_add_f64 v[83:84], v[69:70], -v[73:74]
	v_add_f64 v[85:86], v[56:57], -v[52:53]
	v_fma_f64 v[48:49], v[48:49], s[2:3], v[75:76]
	v_add_f64 v[75:76], v[69:70], v[56:57]
	v_fma_f64 v[81:82], v[77:78], s[12:13], v[81:82]
	v_add_f64 v[87:88], v[34:35], v[26:27]
	;; [unrolled: 2-line block ×4, first 2 shown]
	v_fma_f64 v[26:27], v[79:80], s[14:15], v[42:43]
	v_fma_f64 v[34:35], v[79:80], s[14:15], v[48:49]
	v_add_f64 v[48:49], v[46:47], v[54:55]
	v_add_f64 v[79:80], v[71:72], v[58:59]
	v_fma_f64 v[75:76], v[75:76], -0.5, v[28:29]
	v_fma_f64 v[38:39], v[87:88], s[14:15], v[81:82]
	v_fma_f64 v[42:43], v[87:88], s[14:15], v[77:78]
	v_add_f64 v[28:29], v[44:45], v[56:57]
	v_fma_f64 v[44:45], v[83:84], s[14:15], v[50:51]
	v_fma_f64 v[50:51], v[62:63], s[4:5], v[60:61]
	v_add_f64 v[77:78], v[73:74], -v[69:70]
	v_add_f64 v[81:82], v[52:53], -v[56:57]
	v_add_f64 v[85:86], v[30:31], v[71:72]
	v_fma_f64 v[48:49], v[48:49], -0.5, v[30:31]
	v_add_f64 v[56:57], v[69:70], -v[56:57]
	v_add_f64 v[52:53], v[73:74], -v[52:53]
	v_fma_f64 v[30:31], v[79:80], -0.5, v[30:31]
	v_fma_f64 v[60:61], v[67:68], s[4:5], v[75:76]
	v_fma_f64 v[50:51], v[67:68], s[12:13], v[50:51]
	v_add_f64 v[69:70], v[77:78], v[81:82]
	v_fma_f64 v[67:68], v[67:68], s[0:1], v[75:76]
	v_add_f64 v[73:74], v[85:86], v[46:47]
	v_fma_f64 v[75:76], v[56:57], s[4:5], v[48:49]
	v_add_f64 v[77:78], v[71:72], -v[46:47]
	v_add_f64 v[79:80], v[58:59], -v[54:55]
	v_fma_f64 v[48:49], v[56:57], s[0:1], v[48:49]
	v_fma_f64 v[81:82], v[52:53], s[0:1], v[30:31]
	v_add_f64 v[46:47], v[46:47], -v[71:72]
	v_add_f64 v[71:72], v[54:55], -v[58:59]
	v_fma_f64 v[30:31], v[52:53], s[4:5], v[30:31]
	v_fma_f64 v[60:61], v[62:63], s[2:3], v[60:61]
	;; [unrolled: 1-line block ×3, first 2 shown]
	v_add_f64 v[54:55], v[73:74], v[54:55]
	v_fma_f64 v[67:68], v[52:53], s[12:13], v[75:76]
	v_add_f64 v[73:74], v[77:78], v[79:80]
	v_fma_f64 v[75:76], v[52:53], s[2:3], v[48:49]
	v_fma_f64 v[77:78], v[56:57], s[12:13], v[81:82]
	v_add_f64 v[71:72], v[46:47], v[71:72]
	v_fma_f64 v[79:80], v[56:57], s[2:3], v[30:31]
	v_fma_f64 v[48:49], v[83:84], s[14:15], v[50:51]
	;; [unrolled: 1-line block ×4, first 2 shown]
	v_add_f64 v[30:31], v[54:55], v[58:59]
	v_fma_f64 v[46:47], v[73:74], s[14:15], v[67:68]
	v_fma_f64 v[50:51], v[73:74], s[14:15], v[75:76]
	v_fma_f64 v[54:55], v[71:72], s[14:15], v[77:78]
	v_fma_f64 v[58:59], v[71:72], s[14:15], v[79:80]
	ds_write_b128 v66, v[0:3]
	ds_write_b128 v66, v[4:7] offset:5280
	ds_write_b128 v66, v[16:19] offset:10560
	;; [unrolled: 1-line block ×14, first 2 shown]
	s_waitcnt lgkmcnt(0)
	s_barrier
	ds_read_b128 v[0:3], v66
	buffer_load_dword v4, off, s[44:47], 0  ; 4-byte Folded Reload
	buffer_load_dword v5, off, s[44:47], 0 offset:4 ; 4-byte Folded Reload
	s_mov_b32 s2, 0x3dc013dc
	s_mov_b32 s3, 0x3f43dc01
	s_waitcnt vmcnt(1)
	v_mov_b32_e32 v14, v4
	s_waitcnt vmcnt(0)
	ds_read_b128 v[4:7], v66 offset:2400
	buffer_load_dword v18, off, s[44:47], 0 offset:172 ; 4-byte Folded Reload
	buffer_load_dword v19, off, s[44:47], 0 offset:176 ; 4-byte Folded Reload
	;; [unrolled: 1-line block ×5, first 2 shown]
	v_mad_u64_u32 v[8:9], s[0:1], s10, v14, 0
	s_waitcnt vmcnt(1) lgkmcnt(1)
	v_mul_f64 v[10:11], v[20:21], v[2:3]
	v_mul_f64 v[12:13], v[20:21], v[0:1]
	v_fma_f64 v[0:1], v[18:19], v[0:1], v[10:11]
	v_fma_f64 v[2:3], v[18:19], v[2:3], -v[12:13]
	buffer_load_dword v19, off, s[44:47], 0 offset:108 ; 4-byte Folded Reload
	buffer_load_dword v20, off, s[44:47], 0 offset:112 ; 4-byte Folded Reload
	buffer_load_dword v21, off, s[44:47], 0 offset:116 ; 4-byte Folded Reload
	buffer_load_dword v22, off, s[44:47], 0 offset:120 ; 4-byte Folded Reload
	v_mad_u64_u32 v[14:15], s[0:1], s11, v14, v[9:10]
	s_waitcnt vmcnt(4)
	v_mad_u64_u32 v[15:16], s[0:1], s8, v17, 0
	v_mov_b32_e32 v9, v14
	v_mul_f64 v[0:1], v[0:1], s[2:3]
	v_mov_b32_e32 v10, v16
	v_mad_u64_u32 v[10:11], s[0:1], s9, v17, v[10:11]
	v_mul_f64 v[2:3], v[2:3], s[2:3]
	v_lshlrev_b64 v[8:9], 4, v[8:9]
	v_mov_b32_e32 v16, v10
	v_mov_b32_e32 v14, s7
	v_add_co_u32_e64 v17, s[0:1], s6, v8
	v_addc_co_u32_e64 v18, s[0:1], v14, v9, s[0:1]
	v_lshlrev_b64 v[8:9], 4, v[15:16]
	v_add_co_u32_e64 v14, s[0:1], v17, v8
	v_addc_co_u32_e64 v15, s[0:1], v18, v9, s[0:1]
	global_store_dwordx4 v[14:15], v[0:3], off
	s_mul_i32 s0, s9, 0x96
	s_mul_hi_u32 s1, s8, 0x96
	s_add_i32 s1, s1, s0
	s_mul_i32 s0, s8, 0x96
	s_lshl_b64 s[4:5], s[0:1], 4
	v_mov_b32_e32 v26, s5
	v_add_co_u32_e64 v14, s[0:1], s4, v14
	v_addc_co_u32_e64 v15, s[0:1], v15, v26, s[0:1]
	s_waitcnt vmcnt(1) lgkmcnt(0)
	v_mul_f64 v[10:11], v[21:22], v[6:7]
	v_mul_f64 v[12:13], v[21:22], v[4:5]
	v_fma_f64 v[10:11], v[19:20], v[4:5], v[10:11]
	v_fma_f64 v[12:13], v[19:20], v[6:7], -v[12:13]
	ds_read_b128 v[4:7], v66 offset:4800
	v_mul_f64 v[0:1], v[10:11], s[2:3]
	ds_read_b128 v[8:11], v66 offset:7200
	buffer_load_dword v18, off, s[44:47], 0 offset:124 ; 4-byte Folded Reload
	buffer_load_dword v19, off, s[44:47], 0 offset:128 ; 4-byte Folded Reload
	;; [unrolled: 1-line block ×4, first 2 shown]
	v_mul_f64 v[2:3], v[12:13], s[2:3]
	s_waitcnt vmcnt(0) lgkmcnt(1)
	v_mul_f64 v[12:13], v[20:21], v[6:7]
	v_mul_f64 v[16:17], v[20:21], v[4:5]
	buffer_load_dword v20, off, s[44:47], 0 offset:28 ; 4-byte Folded Reload
	buffer_load_dword v21, off, s[44:47], 0 offset:32 ; 4-byte Folded Reload
	;; [unrolled: 1-line block ×4, first 2 shown]
	v_fma_f64 v[4:5], v[18:19], v[4:5], v[12:13]
	v_fma_f64 v[12:13], v[18:19], v[6:7], -v[16:17]
	global_store_dwordx4 v[14:15], v[0:3], off
	v_add_co_u32_e64 v14, s[0:1], s4, v14
	v_addc_co_u32_e64 v15, s[0:1], v15, v26, s[0:1]
	v_mul_f64 v[0:1], v[4:5], s[2:3]
	ds_read_b128 v[4:7], v66 offset:9600
	v_mul_f64 v[2:3], v[12:13], s[2:3]
	s_waitcnt vmcnt(1) lgkmcnt(1)
	v_mul_f64 v[16:17], v[22:23], v[10:11]
	v_mul_f64 v[18:19], v[22:23], v[8:9]
	v_fma_f64 v[12:13], v[20:21], v[8:9], v[16:17]
	v_fma_f64 v[16:17], v[20:21], v[10:11], -v[18:19]
	ds_read_b128 v[8:11], v66 offset:12000
	buffer_load_dword v22, off, s[44:47], 0 offset:140 ; 4-byte Folded Reload
	buffer_load_dword v23, off, s[44:47], 0 offset:144 ; 4-byte Folded Reload
	;; [unrolled: 1-line block ×4, first 2 shown]
	s_waitcnt vmcnt(0) lgkmcnt(1)
	v_mul_f64 v[18:19], v[24:25], v[6:7]
	v_mul_f64 v[20:21], v[24:25], v[4:5]
	global_store_dwordx4 v[14:15], v[0:3], off
	v_add_co_u32_e64 v14, s[0:1], s4, v14
	v_mul_f64 v[0:1], v[12:13], s[2:3]
	v_mul_f64 v[2:3], v[16:17], s[2:3]
	v_addc_co_u32_e64 v15, s[0:1], v15, v26, s[0:1]
	v_fma_f64 v[4:5], v[22:23], v[4:5], v[18:19]
	v_fma_f64 v[12:13], v[22:23], v[6:7], -v[20:21]
	buffer_load_dword v20, off, s[44:47], 0 offset:44 ; 4-byte Folded Reload
	buffer_load_dword v21, off, s[44:47], 0 offset:48 ; 4-byte Folded Reload
	buffer_load_dword v22, off, s[44:47], 0 offset:52 ; 4-byte Folded Reload
	buffer_load_dword v23, off, s[44:47], 0 offset:56 ; 4-byte Folded Reload
	s_waitcnt vmcnt(0) lgkmcnt(0)
	v_mul_f64 v[16:17], v[22:23], v[10:11]
	v_mul_f64 v[18:19], v[22:23], v[8:9]
	global_store_dwordx4 v[14:15], v[0:3], off
	v_add_co_u32_e64 v14, s[0:1], s4, v14
	v_mul_f64 v[0:1], v[4:5], s[2:3]
	ds_read_b128 v[4:7], v66 offset:14400
	v_mul_f64 v[2:3], v[12:13], s[2:3]
	v_fma_f64 v[12:13], v[20:21], v[8:9], v[16:17]
	v_fma_f64 v[16:17], v[20:21], v[10:11], -v[18:19]
	ds_read_b128 v[8:11], v66 offset:16800
	buffer_load_dword v22, off, s[44:47], 0 offset:60 ; 4-byte Folded Reload
	buffer_load_dword v23, off, s[44:47], 0 offset:64 ; 4-byte Folded Reload
	;; [unrolled: 1-line block ×4, first 2 shown]
	v_addc_co_u32_e64 v15, s[0:1], v15, v26, s[0:1]
	global_store_dwordx4 v[14:15], v[0:3], off
	s_nop 0
	v_mul_f64 v[0:1], v[12:13], s[2:3]
	v_mul_f64 v[2:3], v[16:17], s[2:3]
	v_add_co_u32_e64 v14, s[0:1], s4, v14
	v_addc_co_u32_e64 v15, s[0:1], v15, v26, s[0:1]
	s_waitcnt vmcnt(1) lgkmcnt(1)
	v_mul_f64 v[18:19], v[24:25], v[6:7]
	v_mul_f64 v[20:21], v[24:25], v[4:5]
	v_fma_f64 v[4:5], v[22:23], v[4:5], v[18:19]
	v_fma_f64 v[12:13], v[22:23], v[6:7], -v[20:21]
	buffer_load_dword v20, off, s[44:47], 0 offset:156 ; 4-byte Folded Reload
	buffer_load_dword v21, off, s[44:47], 0 offset:160 ; 4-byte Folded Reload
	;; [unrolled: 1-line block ×4, first 2 shown]
	s_waitcnt vmcnt(0) lgkmcnt(0)
	v_mul_f64 v[16:17], v[22:23], v[10:11]
	v_mul_f64 v[18:19], v[22:23], v[8:9]
	global_store_dwordx4 v[14:15], v[0:3], off
	v_add_co_u32_e64 v22, s[0:1], s4, v14
	v_mul_f64 v[0:1], v[4:5], s[2:3]
	ds_read_b128 v[4:7], v66 offset:19200
	v_mul_f64 v[2:3], v[12:13], s[2:3]
	v_fma_f64 v[12:13], v[20:21], v[8:9], v[16:17]
	v_fma_f64 v[16:17], v[20:21], v[10:11], -v[18:19]
	ds_read_b128 v[8:11], v66 offset:21600
	buffer_load_dword v27, off, s[44:47], 0 offset:12 ; 4-byte Folded Reload
	buffer_load_dword v28, off, s[44:47], 0 offset:16 ; 4-byte Folded Reload
	;; [unrolled: 1-line block ×4, first 2 shown]
	v_addc_co_u32_e64 v23, s[0:1], v15, v26, s[0:1]
	global_store_dwordx4 v[22:23], v[0:3], off
	s_nop 0
	v_mul_f64 v[0:1], v[12:13], s[2:3]
	ds_read_b128 v[12:15], v66 offset:24000
	v_mul_f64 v[2:3], v[16:17], s[2:3]
	v_add_co_u32_e64 v22, s[0:1], s4, v22
	v_addc_co_u32_e64 v23, s[0:1], v23, v26, s[0:1]
	s_waitcnt vmcnt(1) lgkmcnt(2)
	v_mul_f64 v[18:19], v[29:30], v[6:7]
	v_mul_f64 v[20:21], v[29:30], v[4:5]
	v_fma_f64 v[4:5], v[27:28], v[4:5], v[18:19]
	v_fma_f64 v[6:7], v[27:28], v[6:7], -v[20:21]
	buffer_load_dword v27, off, s[44:47], 0 offset:76 ; 4-byte Folded Reload
	buffer_load_dword v28, off, s[44:47], 0 offset:80 ; 4-byte Folded Reload
	;; [unrolled: 1-line block ×4, first 2 shown]
	s_waitcnt vmcnt(0) lgkmcnt(1)
	v_mul_f64 v[16:17], v[29:30], v[10:11]
	v_mul_f64 v[18:19], v[29:30], v[8:9]
	buffer_load_dword v29, off, s[44:47], 0 offset:92 ; 4-byte Folded Reload
	buffer_load_dword v30, off, s[44:47], 0 offset:96 ; 4-byte Folded Reload
	;; [unrolled: 1-line block ×4, first 2 shown]
	s_waitcnt vmcnt(0) lgkmcnt(0)
	v_mul_f64 v[20:21], v[31:32], v[14:15]
	v_mul_f64 v[24:25], v[31:32], v[12:13]
	global_store_dwordx4 v[22:23], v[0:3], off
	s_nop 0
	v_mul_f64 v[0:1], v[4:5], s[2:3]
	v_mul_f64 v[2:3], v[6:7], s[2:3]
	v_fma_f64 v[4:5], v[27:28], v[8:9], v[16:17]
	v_fma_f64 v[6:7], v[27:28], v[10:11], -v[18:19]
	v_fma_f64 v[8:9], v[29:30], v[12:13], v[20:21]
	v_fma_f64 v[10:11], v[29:30], v[14:15], -v[24:25]
	v_add_co_u32_e64 v12, s[0:1], s4, v22
	v_addc_co_u32_e64 v13, s[0:1], v23, v26, s[0:1]
	v_mul_f64 v[4:5], v[4:5], s[2:3]
	v_mul_f64 v[6:7], v[6:7], s[2:3]
	;; [unrolled: 1-line block ×4, first 2 shown]
	global_store_dwordx4 v[12:13], v[0:3], off
	s_nop 0
	v_add_co_u32_e64 v0, s[0:1], s4, v12
	v_addc_co_u32_e64 v1, s[0:1], v13, v26, s[0:1]
	global_store_dwordx4 v[0:1], v[4:7], off
	v_add_co_u32_e64 v0, s[0:1], s4, v0
	v_addc_co_u32_e64 v1, s[0:1], v1, v26, s[0:1]
	global_store_dwordx4 v[0:1], v[8:11], off
	s_and_b64 exec, exec, vcc
	s_cbranch_execz .LBB0_23
; %bb.22:
	global_load_dwordx4 v[2:5], v[64:65], off offset:1760
	ds_read_b128 v[6:9], v66 offset:1760
	ds_read_b128 v[10:13], v66 offset:4160
	s_mul_i32 s6, s9, 0xffffa920
	s_movk_i32 s7, 0x1000
	v_mov_b32_e32 v18, s5
	s_waitcnt vmcnt(0) lgkmcnt(1)
	v_mul_f64 v[14:15], v[8:9], v[4:5]
	v_mul_f64 v[4:5], v[6:7], v[4:5]
	v_fma_f64 v[6:7], v[6:7], v[2:3], v[14:15]
	v_fma_f64 v[4:5], v[2:3], v[8:9], -v[4:5]
	v_mov_b32_e32 v8, 0xffffa920
	v_mul_f64 v[2:3], v[6:7], s[2:3]
	v_mul_f64 v[4:5], v[4:5], s[2:3]
	v_mad_u64_u32 v[6:7], s[0:1], s8, v8, v[0:1]
	s_sub_i32 s0, s6, s8
	v_add_co_u32_e32 v8, vcc, s7, v64
	v_add_u32_e32 v7, s0, v7
	v_addc_co_u32_e32 v9, vcc, 0, v65, vcc
	global_store_dwordx4 v[6:7], v[2:5], off
	global_load_dwordx4 v[0:3], v[8:9], off offset:64
	s_movk_i32 s0, 0x2000
	s_waitcnt vmcnt(0) lgkmcnt(0)
	v_mul_f64 v[4:5], v[12:13], v[2:3]
	v_mul_f64 v[2:3], v[10:11], v[2:3]
	v_fma_f64 v[4:5], v[10:11], v[0:1], v[4:5]
	v_fma_f64 v[2:3], v[0:1], v[12:13], -v[2:3]
	v_add_co_u32_e32 v12, vcc, s4, v6
	v_addc_co_u32_e32 v13, vcc, v7, v18, vcc
	v_mul_f64 v[0:1], v[4:5], s[2:3]
	v_mul_f64 v[2:3], v[2:3], s[2:3]
	global_store_dwordx4 v[12:13], v[0:3], off
	global_load_dwordx4 v[0:3], v[8:9], off offset:2464
	ds_read_b128 v[4:7], v66 offset:6560
	ds_read_b128 v[8:11], v66 offset:8960
	s_waitcnt vmcnt(0) lgkmcnt(1)
	v_mul_f64 v[14:15], v[6:7], v[2:3]
	v_mul_f64 v[2:3], v[4:5], v[2:3]
	v_fma_f64 v[4:5], v[4:5], v[0:1], v[14:15]
	v_fma_f64 v[2:3], v[0:1], v[6:7], -v[2:3]
	v_mul_f64 v[0:1], v[4:5], s[2:3]
	v_mul_f64 v[2:3], v[2:3], s[2:3]
	v_add_co_u32_e32 v4, vcc, s0, v64
	v_addc_co_u32_e32 v5, vcc, 0, v65, vcc
	v_add_co_u32_e32 v6, vcc, s4, v12
	v_addc_co_u32_e32 v7, vcc, v13, v18, vcc
	global_store_dwordx4 v[6:7], v[0:3], off
	global_load_dwordx4 v[0:3], v[4:5], off offset:768
	s_movk_i32 s0, 0x3000
	s_waitcnt vmcnt(0) lgkmcnt(0)
	v_mul_f64 v[12:13], v[10:11], v[2:3]
	v_mul_f64 v[2:3], v[8:9], v[2:3]
	v_fma_f64 v[8:9], v[8:9], v[0:1], v[12:13]
	v_fma_f64 v[2:3], v[0:1], v[10:11], -v[2:3]
	v_add_co_u32_e32 v12, vcc, s4, v6
	v_addc_co_u32_e32 v13, vcc, v7, v18, vcc
	v_mul_f64 v[0:1], v[8:9], s[2:3]
	v_mul_f64 v[2:3], v[2:3], s[2:3]
	global_store_dwordx4 v[12:13], v[0:3], off
	global_load_dwordx4 v[0:3], v[4:5], off offset:3168
	ds_read_b128 v[4:7], v66 offset:11360
	ds_read_b128 v[8:11], v66 offset:13760
	s_waitcnt vmcnt(0) lgkmcnt(1)
	v_mul_f64 v[14:15], v[6:7], v[2:3]
	v_mul_f64 v[2:3], v[4:5], v[2:3]
	v_fma_f64 v[4:5], v[4:5], v[0:1], v[14:15]
	v_fma_f64 v[2:3], v[0:1], v[6:7], -v[2:3]
	v_mul_f64 v[0:1], v[4:5], s[2:3]
	v_mul_f64 v[2:3], v[2:3], s[2:3]
	v_add_co_u32_e32 v4, vcc, s0, v64
	v_addc_co_u32_e32 v5, vcc, 0, v65, vcc
	v_add_co_u32_e32 v6, vcc, s4, v12
	;; [unrolled: 27-line block ×3, first 2 shown]
	v_addc_co_u32_e32 v7, vcc, v13, v18, vcc
	global_store_dwordx4 v[6:7], v[0:3], off
	global_load_dwordx4 v[0:3], v[4:5], off offset:2176
	s_movk_i32 s0, 0x5000
	v_add_co_u32_e32 v12, vcc, s0, v64
	v_addc_co_u32_e32 v13, vcc, 0, v65, vcc
	v_add_co_u32_e32 v14, vcc, s4, v6
	v_addc_co_u32_e32 v15, vcc, v7, v18, vcc
	s_movk_i32 s0, 0x6000
	s_waitcnt vmcnt(0) lgkmcnt(0)
	v_mul_f64 v[4:5], v[10:11], v[2:3]
	v_mul_f64 v[2:3], v[8:9], v[2:3]
	v_fma_f64 v[4:5], v[8:9], v[0:1], v[4:5]
	v_fma_f64 v[2:3], v[0:1], v[10:11], -v[2:3]
	v_mul_f64 v[0:1], v[4:5], s[2:3]
	v_mul_f64 v[2:3], v[2:3], s[2:3]
	global_store_dwordx4 v[14:15], v[0:3], off
	global_load_dwordx4 v[0:3], v[12:13], off offset:480
	ds_read_b128 v[4:7], v66 offset:20960
	ds_read_b128 v[8:11], v66 offset:23360
	s_waitcnt vmcnt(0) lgkmcnt(1)
	v_mul_f64 v[16:17], v[6:7], v[2:3]
	v_mul_f64 v[2:3], v[4:5], v[2:3]
	v_fma_f64 v[4:5], v[4:5], v[0:1], v[16:17]
	v_fma_f64 v[2:3], v[0:1], v[6:7], -v[2:3]
	v_mul_f64 v[0:1], v[4:5], s[2:3]
	v_mul_f64 v[2:3], v[2:3], s[2:3]
	v_add_co_u32_e32 v4, vcc, s4, v14
	v_addc_co_u32_e32 v5, vcc, v15, v18, vcc
	global_store_dwordx4 v[4:5], v[0:3], off
	global_load_dwordx4 v[0:3], v[12:13], off offset:2880
	s_waitcnt vmcnt(0) lgkmcnt(0)
	v_mul_f64 v[6:7], v[10:11], v[2:3]
	v_mul_f64 v[2:3], v[8:9], v[2:3]
	v_fma_f64 v[6:7], v[8:9], v[0:1], v[6:7]
	v_fma_f64 v[2:3], v[0:1], v[10:11], -v[2:3]
	v_mul_f64 v[0:1], v[6:7], s[2:3]
	v_mul_f64 v[2:3], v[2:3], s[2:3]
	v_add_co_u32_e32 v6, vcc, s0, v64
	v_addc_co_u32_e32 v7, vcc, 0, v65, vcc
	v_add_co_u32_e32 v8, vcc, s4, v4
	v_addc_co_u32_e32 v9, vcc, v5, v18, vcc
	global_store_dwordx4 v[8:9], v[0:3], off
	global_load_dwordx4 v[0:3], v[6:7], off offset:1184
	ds_read_b128 v[4:7], v66 offset:25760
	s_waitcnt vmcnt(0) lgkmcnt(0)
	v_mul_f64 v[10:11], v[6:7], v[2:3]
	v_mul_f64 v[2:3], v[4:5], v[2:3]
	v_fma_f64 v[4:5], v[4:5], v[0:1], v[10:11]
	v_fma_f64 v[2:3], v[0:1], v[6:7], -v[2:3]
	v_mul_f64 v[0:1], v[4:5], s[2:3]
	v_mul_f64 v[2:3], v[2:3], s[2:3]
	v_add_co_u32_e32 v4, vcc, s4, v8
	v_addc_co_u32_e32 v5, vcc, v9, v18, vcc
	global_store_dwordx4 v[4:5], v[0:3], off
.LBB0_23:
	s_endpgm
	.section	.rodata,"a",@progbits
	.p2align	6, 0x0
	.amdhsa_kernel bluestein_single_fwd_len1650_dim1_dp_op_CI_CI
		.amdhsa_group_segment_fixed_size 26400
		.amdhsa_private_segment_fixed_size 708
		.amdhsa_kernarg_size 104
		.amdhsa_user_sgpr_count 6
		.amdhsa_user_sgpr_private_segment_buffer 1
		.amdhsa_user_sgpr_dispatch_ptr 0
		.amdhsa_user_sgpr_queue_ptr 0
		.amdhsa_user_sgpr_kernarg_segment_ptr 1
		.amdhsa_user_sgpr_dispatch_id 0
		.amdhsa_user_sgpr_flat_scratch_init 0
		.amdhsa_user_sgpr_private_segment_size 0
		.amdhsa_uses_dynamic_stack 0
		.amdhsa_system_sgpr_private_segment_wavefront_offset 1
		.amdhsa_system_sgpr_workgroup_id_x 1
		.amdhsa_system_sgpr_workgroup_id_y 0
		.amdhsa_system_sgpr_workgroup_id_z 0
		.amdhsa_system_sgpr_workgroup_info 0
		.amdhsa_system_vgpr_workitem_id 0
		.amdhsa_next_free_vgpr 256
		.amdhsa_next_free_sgpr 48
		.amdhsa_reserve_vcc 1
		.amdhsa_reserve_flat_scratch 0
		.amdhsa_float_round_mode_32 0
		.amdhsa_float_round_mode_16_64 0
		.amdhsa_float_denorm_mode_32 3
		.amdhsa_float_denorm_mode_16_64 3
		.amdhsa_dx10_clamp 1
		.amdhsa_ieee_mode 1
		.amdhsa_fp16_overflow 0
		.amdhsa_exception_fp_ieee_invalid_op 0
		.amdhsa_exception_fp_denorm_src 0
		.amdhsa_exception_fp_ieee_div_zero 0
		.amdhsa_exception_fp_ieee_overflow 0
		.amdhsa_exception_fp_ieee_underflow 0
		.amdhsa_exception_fp_ieee_inexact 0
		.amdhsa_exception_int_div_zero 0
	.end_amdhsa_kernel
	.text
.Lfunc_end0:
	.size	bluestein_single_fwd_len1650_dim1_dp_op_CI_CI, .Lfunc_end0-bluestein_single_fwd_len1650_dim1_dp_op_CI_CI
                                        ; -- End function
	.section	.AMDGPU.csdata,"",@progbits
; Kernel info:
; codeLenInByte = 33956
; NumSgprs: 52
; NumVgprs: 256
; ScratchSize: 708
; MemoryBound: 0
; FloatMode: 240
; IeeeMode: 1
; LDSByteSize: 26400 bytes/workgroup (compile time only)
; SGPRBlocks: 6
; VGPRBlocks: 63
; NumSGPRsForWavesPerEU: 52
; NumVGPRsForWavesPerEU: 256
; Occupancy: 1
; WaveLimiterHint : 1
; COMPUTE_PGM_RSRC2:SCRATCH_EN: 1
; COMPUTE_PGM_RSRC2:USER_SGPR: 6
; COMPUTE_PGM_RSRC2:TRAP_HANDLER: 0
; COMPUTE_PGM_RSRC2:TGID_X_EN: 1
; COMPUTE_PGM_RSRC2:TGID_Y_EN: 0
; COMPUTE_PGM_RSRC2:TGID_Z_EN: 0
; COMPUTE_PGM_RSRC2:TIDIG_COMP_CNT: 0
	.type	__hip_cuid_6aa34a743db64b80,@object ; @__hip_cuid_6aa34a743db64b80
	.section	.bss,"aw",@nobits
	.globl	__hip_cuid_6aa34a743db64b80
__hip_cuid_6aa34a743db64b80:
	.byte	0                               ; 0x0
	.size	__hip_cuid_6aa34a743db64b80, 1

	.ident	"AMD clang version 19.0.0git (https://github.com/RadeonOpenCompute/llvm-project roc-6.4.0 25133 c7fe45cf4b819c5991fe208aaa96edf142730f1d)"
	.section	".note.GNU-stack","",@progbits
	.addrsig
	.addrsig_sym __hip_cuid_6aa34a743db64b80
	.amdgpu_metadata
---
amdhsa.kernels:
  - .args:
      - .actual_access:  read_only
        .address_space:  global
        .offset:         0
        .size:           8
        .value_kind:     global_buffer
      - .actual_access:  read_only
        .address_space:  global
        .offset:         8
        .size:           8
        .value_kind:     global_buffer
      - .actual_access:  read_only
        .address_space:  global
        .offset:         16
        .size:           8
        .value_kind:     global_buffer
      - .actual_access:  read_only
        .address_space:  global
        .offset:         24
        .size:           8
        .value_kind:     global_buffer
      - .actual_access:  read_only
        .address_space:  global
        .offset:         32
        .size:           8
        .value_kind:     global_buffer
      - .offset:         40
        .size:           8
        .value_kind:     by_value
      - .address_space:  global
        .offset:         48
        .size:           8
        .value_kind:     global_buffer
      - .address_space:  global
        .offset:         56
        .size:           8
        .value_kind:     global_buffer
      - .address_space:  global
        .offset:         64
        .size:           8
        .value_kind:     global_buffer
      - .address_space:  global
        .offset:         72
        .size:           8
        .value_kind:     global_buffer
      - .offset:         80
        .size:           4
        .value_kind:     by_value
      - .address_space:  global
        .offset:         88
        .size:           8
        .value_kind:     global_buffer
      - .address_space:  global
        .offset:         96
        .size:           8
        .value_kind:     global_buffer
    .group_segment_fixed_size: 26400
    .kernarg_segment_align: 8
    .kernarg_segment_size: 104
    .language:       OpenCL C
    .language_version:
      - 2
      - 0
    .max_flat_workgroup_size: 110
    .name:           bluestein_single_fwd_len1650_dim1_dp_op_CI_CI
    .private_segment_fixed_size: 708
    .sgpr_count:     52
    .sgpr_spill_count: 0
    .symbol:         bluestein_single_fwd_len1650_dim1_dp_op_CI_CI.kd
    .uniform_work_group_size: 1
    .uses_dynamic_stack: false
    .vgpr_count:     256
    .vgpr_spill_count: 176
    .wavefront_size: 64
amdhsa.target:   amdgcn-amd-amdhsa--gfx906
amdhsa.version:
  - 1
  - 2
...

	.end_amdgpu_metadata
